;; amdgpu-corpus repo=ROCm/rocFFT kind=compiled arch=gfx950 opt=O3
	.text
	.amdgcn_target "amdgcn-amd-amdhsa--gfx950"
	.amdhsa_code_object_version 6
	.protected	bluestein_single_back_len3750_dim1_sp_op_CI_CI ; -- Begin function bluestein_single_back_len3750_dim1_sp_op_CI_CI
	.globl	bluestein_single_back_len3750_dim1_sp_op_CI_CI
	.p2align	8
	.type	bluestein_single_back_len3750_dim1_sp_op_CI_CI,@function
bluestein_single_back_len3750_dim1_sp_op_CI_CI: ; @bluestein_single_back_len3750_dim1_sp_op_CI_CI
; %bb.0:
	s_load_dwordx4 s[4:7], s[0:1], 0x28
	v_mul_u32_u24_e32 v1, 0x20d, v0
	v_add_u32_sdwa v96, s2, v1 dst_sel:DWORD dst_unused:UNUSED_PAD src0_sel:DWORD src1_sel:WORD_1
	v_mov_b32_e32 v97, 0
	s_waitcnt lgkmcnt(0)
	v_cmp_gt_u64_e32 vcc, s[4:5], v[96:97]
	s_and_saveexec_b64 s[2:3], vcc
	s_cbranch_execz .LBB0_2
; %bb.1:
	s_load_dwordx4 s[12:15], s[0:1], 0x18
	s_load_dwordx4 s[8:11], s[0:1], 0x0
	v_mov_b32_e32 v2, s6
	v_mov_b32_e32 v3, s7
	s_movk_i32 s2, 0x7d
	s_waitcnt lgkmcnt(0)
	s_load_dwordx4 s[4:7], s[14:15], 0x0
	v_mul_lo_u16_sdwa v1, v1, s2 dst_sel:DWORD dst_unused:UNUSED_PAD src0_sel:WORD_1 src1_sel:DWORD
	s_load_dwordx4 s[12:15], s[12:13], 0x0
	v_sub_u16_e32 v224, v0, v1
	v_mov_b32_e32 v36, 0x2710
	s_waitcnt lgkmcnt(0)
	v_mad_u64_u32 v[4:5], s[2:3], s6, v96, 0
	v_mov_b32_e32 v0, v5
	v_mad_u64_u32 v[0:1], s[2:3], s7, v96, v[0:1]
	v_accvgpr_write_b32 a2, v0
	v_mad_u64_u32 v[0:1], s[2:3], s14, v96, 0
	v_accvgpr_write_b32 a0, v4
	v_mov_b32_e32 v4, v1
	v_mad_u64_u32 v[4:5], s[2:3], s15, v96, v[4:5]
	v_mov_b32_e32 v1, v4
	v_mad_u64_u32 v[4:5], s[2:3], s12, v224, 0
	;; [unrolled: 2-line block ×3, first 2 shown]
	v_mov_b32_e32 v5, v6
	v_lshl_add_u64 v[0:1], v[0:1], 3, v[2:3]
	v_lshl_add_u64 v[0:1], v[4:5], 3, v[0:1]
	global_load_dwordx2 v[8:9], v[0:1], off
	v_lshlrev_b32_e32 v96, 3, v224
	v_mad_u64_u32 v[0:1], s[2:3], s12, v36, v[0:1]
	v_lshl_add_u64 v[40:41], s[8:9], 0, v[96:97]
	s_mul_i32 s2, s13, 0x2710
	s_movk_i32 s3, 0x2000
	v_add_u32_e32 v1, s2, v1
	v_add_co_u32_e32 v6, vcc, s3, v40
	v_mad_u64_u32 v[10:11], s[6:7], s12, v36, v[0:1]
	s_nop 0
	v_addc_co_u32_e32 v7, vcc, 0, v41, vcc
	s_movk_i32 s3, 0x4000
	global_load_dwordx2 v[2:3], v[0:1], off
	v_add_u32_e32 v11, s2, v11
	v_add_co_u32_e32 v4, vcc, s3, v40
	v_mov_b32_e32 v0, 0xffffb5c8
	s_mul_i32 s3, s13, 0xffffb5c8
	v_mad_u64_u32 v[14:15], s[6:7], s12, v0, v[10:11]
	s_sub_i32 s3, s3, s12
	v_add_u32_e32 v15, s3, v15
	global_load_dwordx2 v[42:43], v96, s[8:9]
	v_mad_u64_u32 v[16:17], s[6:7], s12, v36, v[14:15]
	v_add_u32_e32 v17, s2, v17
	global_load_dwordx2 v[44:45], v[6:7], off offset:1808
	v_mad_u64_u32 v[18:19], s[6:7], s12, v36, v[16:17]
	v_addc_co_u32_e32 v5, vcc, 0, v41, vcc
	global_load_dwordx2 v[70:71], v[4:5], off offset:3616
	v_mov_b32_e32 v34, 0xffffb5c8
	v_add_u32_e32 v19, s2, v19
	s_movk_i32 s6, 0x5000
	global_load_dwordx2 v[72:73], v96, s[8:9] offset:1000
	global_load_dwordx2 v[0:1], v[10:11], off
	global_load_dwordx2 v[12:13], v[14:15], off
	s_nop 0
	global_load_dwordx2 v[10:11], v[16:17], off
	global_load_dwordx2 v[66:67], v[6:7], off offset:2808
	v_add_co_u32_e32 v16, vcc, s6, v40
	v_mad_u64_u32 v[20:21], s[6:7], s12, v34, v[18:19]
	v_add_u32_e32 v21, s3, v21
	v_mad_u64_u32 v[22:23], s[6:7], s12, v36, v[20:21]
	v_addc_co_u32_e32 v17, vcc, 0, v41, vcc
	v_add_u32_e32 v23, s2, v23
	global_load_dwordx2 v[14:15], v[18:19], off
	global_load_dwordx2 v[68:69], v[16:17], off offset:520
	s_nop 0
	global_load_dwordx2 v[18:19], v[20:21], off
	global_load_dwordx2 v[64:65], v96, s[8:9] offset:2000
	s_nop 0
	global_load_dwordx2 v[20:21], v[22:23], off
	global_load_dwordx2 v[60:61], v[6:7], off offset:3808
	v_mad_u64_u32 v[24:25], s[6:7], s12, v36, v[22:23]
	v_add_u32_e32 v25, s2, v25
	global_load_dwordx2 v[22:23], v[24:25], off
	global_load_dwordx2 v[56:57], v[16:17], off offset:1520
	v_mad_u64_u32 v[26:27], s[6:7], s12, v34, v[24:25]
	v_add_u32_e32 v27, s3, v27
	global_load_dwordx2 v[24:25], v[26:27], off
	global_load_dwordx2 v[54:55], v96, s[8:9] offset:3000
	v_mad_u64_u32 v[28:29], s[6:7], s12, v36, v[26:27]
	v_add_u32_e32 v29, s2, v29
	s_movk_i32 s6, 0x3000
	global_load_dwordx2 v[26:27], v[28:29], off
	v_add_co_u32_e32 v30, vcc, s6, v40
	v_mad_u64_u32 v[28:29], s[6:7], s12, v36, v[28:29]
	s_nop 0
	v_addc_co_u32_e32 v31, vcc, 0, v41, vcc
	v_add_u32_e32 v29, s2, v29
	global_load_dwordx2 v[58:59], v[30:31], off offset:712
	global_load_dwordx2 v[32:33], v[28:29], off
	global_load_dwordx2 v[52:53], v[16:17], off offset:2520
	v_mad_u64_u32 v[28:29], s[6:7], s12, v34, v[28:29]
	v_add_u32_e32 v29, s3, v29
	v_mad_u64_u32 v[36:37], s[6:7], s12, v36, v[28:29]
	v_add_u32_e32 v37, s2, v37
	global_load_dwordx2 v[34:35], v[28:29], off
	global_load_dwordx2 v[50:51], v96, s[8:9] offset:4000
	s_nop 0
	global_load_dwordx2 v[28:29], v[36:37], off
	global_load_dwordx2 v[48:49], v[30:31], off offset:1712
	s_mov_b32 s6, 0
	v_mov_b32_e32 v225, s6
	s_mov_b64 s[6:7], 0x7d
	v_lshl_add_u64 v[110:111], v[224:225], 0, s[6:7]
	s_mov_b64 s[6:7], 0xfa
	v_lshl_add_u64 v[108:109], v[224:225], 0, s[6:7]
	s_movk_i32 s13, 0x1000
	v_add_u32_e32 v75, 0x3000, v96
	v_accvgpr_write_b32 a65, v75
	s_mov_b32 s8, 0x3f167918
	s_mov_b32 s16, 0xbf737871
	s_mov_b32 s19, s8
	s_load_dwordx2 s[0:1], s[0:1], 0x38
	s_waitcnt vmcnt(25)
	v_mul_f32_e32 v38, v9, v43
	v_fmac_f32_e32 v38, v8, v42
	v_mul_f32_e32 v8, v8, v43
	v_accvgpr_write_b32 a24, v42
	v_fma_f32 v39, v9, v42, -v8
	v_accvgpr_write_b32 a25, v43
	global_load_dwordx2 v[42:43], v[6:7], off offset:808
	s_waitcnt vmcnt(25)
	v_mul_f32_e32 v6, v3, v45
	v_fmac_f32_e32 v6, v2, v44
	v_mul_f32_e32 v2, v2, v45
	v_fma_f32 v7, v3, v44, -v2
	v_accvgpr_write_b32 a63, v45
	ds_write_b64 v96, v[6:7] offset:10000
	s_waitcnt vmcnt(22)
	v_mul_f32_e32 v2, v1, v71
	v_fmac_f32_e32 v2, v0, v70
	v_mul_f32_e32 v0, v0, v71
	v_fma_f32 v3, v1, v70, -v0
	s_waitcnt vmcnt(21)
	v_mul_f32_e32 v0, v13, v73
	v_mul_f32_e32 v1, v12, v73
	v_fmac_f32_e32 v0, v12, v72
	v_fma_f32 v1, v13, v72, -v1
	v_accvgpr_write_b32 a62, v44
	global_load_dwordx2 v[62:63], v[4:5], off offset:616
	global_load_dwordx2 v[46:47], v[4:5], off offset:1616
	;; [unrolled: 1-line block ×3, first 2 shown]
	ds_write_b64 v96, v[2:3] offset:20000
	ds_write2_b64 v96, v[38:39], v[0:1] offset1:125
	s_waitcnt vmcnt(22)
	v_mul_f32_e32 v0, v11, v67
	v_mul_f32_e32 v1, v10, v67
	v_fmac_f32_e32 v0, v10, v66
	s_waitcnt vmcnt(16)
	v_mul_f32_e32 v6, v21, v61
	v_mul_f32_e32 v7, v20, v61
	v_fma_f32 v1, v11, v66, -v1
	v_fmac_f32_e32 v6, v20, v60
	v_fma_f32 v7, v21, v60, -v7
	v_add_u32_e32 v8, 0x2800, v96
	v_mul_f32_e32 v2, v15, v69
	v_mul_f32_e32 v3, v14, v69
	ds_write2_b64 v8, v[0:1], v[6:7] offset0:95 offset1:220
	s_waitcnt vmcnt(14)
	v_mul_f32_e32 v0, v23, v57
	v_mul_f32_e32 v1, v22, v57
	v_fmac_f32_e32 v2, v14, v68
	v_fma_f32 v3, v15, v68, -v3
	v_fmac_f32_e32 v0, v22, v56
	v_fma_f32 v1, v23, v56, -v1
	v_add_u32_e32 v6, 0x5000, v96
	v_mul_f32_e32 v4, v19, v65
	v_mul_f32_e32 v5, v18, v65
	ds_write2_b64 v6, v[2:3], v[0:1] offset0:65 offset1:190
	s_waitcnt vmcnt(12)
	v_mul_f32_e32 v0, v25, v55
	v_mul_f32_e32 v1, v24, v55
	v_fmac_f32_e32 v4, v18, v64
	v_fma_f32 v5, v19, v64, -v5
	v_fmac_f32_e32 v0, v24, v54
	v_fma_f32 v1, v25, v54, -v1
	v_add_u32_e32 v2, 0x400, v96
	v_accvgpr_write_b32 a60, v70
	v_accvgpr_write_b32 a56, v66
	;; [unrolled: 1-line block ×3, first 2 shown]
	ds_write2_b64 v2, v[4:5], v[0:1] offset0:122 offset1:247
	v_accvgpr_write_b32 a61, v71
	v_accvgpr_write_b32 a57, v67
	global_load_dwordx2 v[70:71], v[16:17], off offset:3520
	v_accvgpr_write_b32 a49, v57
	global_load_dwordx2 v[66:67], v[30:31], off offset:2712
	global_load_dwordx2 v[56:57], v[30:31], off offset:3712
	v_mov_b32_e32 v30, 0x2710
	v_accvgpr_write_b32 a3, v8
	v_mad_u64_u32 v[8:9], s[6:7], s12, v30, v[36:37]
	v_add_u32_e32 v9, s2, v9
	v_mov_b32_e32 v7, 0xffffb5c8
	global_load_dwordx2 v[10:11], v[8:9], off
	v_mad_u64_u32 v[8:9], s[6:7], s12, v7, v[8:9]
	v_add_u32_e32 v9, s3, v9
	global_load_dwordx2 v[12:13], v[8:9], off
	v_mad_u64_u32 v[8:9], s[6:7], s12, v30, v[8:9]
	v_add_u32_e32 v9, s2, v9
	v_add_co_u32_e32 v14, vcc, s13, v40
	global_load_dwordx2 v[16:17], v[8:9], off
	v_mad_u64_u32 v[8:9], s[6:7], s12, v30, v[8:9]
	v_addc_co_u32_e32 v15, vcc, 0, v41, vcc
	v_add_u32_e32 v9, s2, v9
	s_movk_i32 s6, 0x6000
	global_load_dwordx2 v[18:19], v[8:9], off
	v_add_co_u32_e32 v20, vcc, s6, v40
	v_mad_u64_u32 v[8:9], s[6:7], s12, v7, v[8:9]
	v_accvgpr_write_b32 a58, v72
	v_accvgpr_write_b32 a54, v68
	;; [unrolled: 1-line block ×3, first 2 shown]
	v_addc_co_u32_e32 v21, vcc, 0, v41, vcc
	v_add_u32_e32 v9, s3, v9
	v_accvgpr_write_b32 a59, v73
	v_accvgpr_write_b32 a55, v69
	;; [unrolled: 1-line block ×3, first 2 shown]
	global_load_dwordx2 v[72:73], v[14:15], off offset:904
	global_load_dwordx2 v[68:69], v[20:21], off offset:424
	global_load_dwordx2 v[22:23], v[8:9], off
	global_load_dwordx2 v[64:65], v[14:15], off offset:1904
	v_mad_u64_u32 v[8:9], s[6:7], s12, v30, v[8:9]
	v_add_u32_e32 v9, s2, v9
	global_load_dwordx2 v[24:25], v[8:9], off
	v_mad_u64_u32 v[8:9], s[6:7], s12, v30, v[8:9]
	v_accvgpr_write_b32 a50, v60
	s_waitcnt vmcnt(22)
	v_mul_f32_e32 v0, v27, v59
	v_mul_f32_e32 v1, v26, v59
	v_mov_b32_e32 v39, 0xffffb5c8
	v_add_u32_e32 v9, s2, v9
	v_accvgpr_write_b32 a51, v61
	v_fmac_f32_e32 v0, v26, v58
	v_fma_f32 v1, v27, v58, -v1
	global_load_dwordx2 v[26:27], v[8:9], off
	global_load_dwordx2 v[60:61], v[20:21], off offset:1424
	v_mad_u64_u32 v[8:9], s[6:7], s12, v39, v[8:9]
	v_accvgpr_write_b32 a64, v6
	v_accvgpr_write_b32 a42, v58
	s_waitcnt vmcnt(18)
	v_mul_f32_e32 v6, v29, v49
	v_mul_f32_e32 v7, v28, v49
	v_add_u32_e32 v9, s3, v9
	v_accvgpr_write_b32 a43, v59
	v_fmac_f32_e32 v6, v28, v48
	v_fma_f32 v7, v29, v48, -v7
	global_load_dwordx2 v[28:29], v[8:9], off
	global_load_dwordx2 v[58:59], v[14:15], off offset:2904
	v_mad_u64_u32 v[8:9], s[6:7], s12, v30, v[8:9]
	v_mov_b32_e32 v38, 0x2710
	v_add_u32_e32 v9, s2, v9
	global_load_dwordx2 v[30:31], v[8:9], off
	v_mad_u64_u32 v[8:9], s[6:7], s12, v38, v[8:9]
	v_accvgpr_write_b32 a46, v54
	v_mov_b32_e32 v74, v2
	v_mul_f32_e32 v2, v33, v53
	v_mul_f32_e32 v3, v32, v53
	v_add_u32_e32 v9, s2, v9
	v_accvgpr_write_b32 a47, v55
	v_fmac_f32_e32 v2, v32, v52
	v_fma_f32 v3, v33, v52, -v3
	global_load_dwordx2 v[32:33], v[8:9], off
	global_load_dwordx2 v[54:55], v[20:21], off offset:2424
	v_mad_u64_u32 v[8:9], s[6:7], s12, v39, v[8:9]
	v_accvgpr_write_b32 a38, v52
	v_mul_f32_e32 v4, v35, v51
	v_mul_f32_e32 v5, v34, v51
	v_add_u32_e32 v9, s3, v9
	v_accvgpr_write_b32 a39, v53
	v_fmac_f32_e32 v4, v34, v50
	v_fma_f32 v5, v35, v50, -v5
	global_load_dwordx2 v[34:35], v[8:9], off
	global_load_dwordx2 v[52:53], v[14:15], off offset:3904
	v_mad_u64_u32 v[8:9], s[6:7], s12, v38, v[8:9]
	v_add_u32_e32 v9, s2, v9
	global_load_dwordx2 v[14:15], v[8:9], off
	v_mad_u64_u32 v[8:9], s[6:7], s12, v38, v[8:9]
	v_accvgpr_write_b32 a32, v50
	v_add_u32_e32 v9, s2, v9
	v_accvgpr_write_b32 a33, v51
	global_load_dwordx2 v[36:37], v[8:9], off
	global_load_dwordx2 v[50:51], v[20:21], off offset:3424
	v_mad_u64_u32 v[8:9], s[6:7], s12, v39, v[8:9]
	v_add_u32_e32 v9, s3, v9
	v_accvgpr_write_b32 a30, v48
	global_load_dwordx2 v[20:21], v[8:9], off
	v_mad_u64_u32 v[8:9], s[6:7], s12, v38, v[8:9]
	v_accvgpr_write_b32 a31, v49
	v_mov_b32_e32 v48, 0x2710
	v_add_u32_e32 v9, s2, v9
	global_load_dwordx2 v[38:39], v[8:9], off
	v_mad_u64_u32 v[8:9], s[6:7], s12, v48, v[8:9]
	v_add_u32_e32 v9, s2, v9
	s_movk_i32 s2, 0x7000
	v_add_co_u32_e32 v76, vcc, s2, v40
	global_load_dwordx2 v[8:9], v[8:9], off
	s_nop 0
	v_addc_co_u32_e32 v77, vcc, 0, v41, vcc
	global_load_dwordx2 v[48:49], v[76:77], off offset:328
	ds_write2_b64 v75, v[0:1], v[6:7] offset0:89 offset1:214
	s_waitcnt vmcnt(24)
	v_mul_f32_e32 v0, v11, v71
	v_mul_f32_e32 v1, v10, v71
	v_fmac_f32_e32 v0, v10, v70
	v_fma_f32 v1, v11, v70, -v1
	v_add_u32_e32 v6, 0x5800, v96
	ds_write2_b64 v6, v[2:3], v[0:1] offset0:59 offset1:184
	s_waitcnt vmcnt(20)
	v_mul_f32_e32 v0, v13, v73
	v_mul_f32_e32 v1, v12, v73
	v_fmac_f32_e32 v0, v12, v72
	v_fma_f32 v1, v13, v72, -v1
	v_add_u32_e32 v2, 0xc00, v96
	v_accvgpr_write_b32 a66, v6
	ds_write2_b64 v2, v[4:5], v[0:1] offset0:116 offset1:241
	v_mul_f32_e32 v0, v17, v67
	v_mul_f32_e32 v1, v16, v67
	s_waitcnt vmcnt(16)
	v_mul_f32_e32 v6, v25, v57
	v_mul_f32_e32 v7, v24, v57
	v_accvgpr_write_b32 a44, v70
	v_fmac_f32_e32 v0, v16, v66
	v_fma_f32 v1, v17, v66, -v1
	v_fmac_f32_e32 v6, v24, v56
	v_fma_f32 v7, v25, v56, -v7
	v_add_u32_e32 v10, 0x3800, v96
	v_accvgpr_write_b32 a45, v71
	v_mov_b32_e32 v70, v2
	v_mul_f32_e32 v2, v19, v69
	v_mul_f32_e32 v3, v18, v69
	ds_write2_b64 v10, v[0:1], v[6:7] offset0:83 offset1:208
	s_waitcnt vmcnt(14)
	v_mul_f32_e32 v0, v27, v61
	v_mul_f32_e32 v1, v26, v61
	v_fmac_f32_e32 v2, v18, v68
	v_fma_f32 v3, v19, v68, -v3
	v_fmac_f32_e32 v0, v26, v60
	v_fma_f32 v1, v27, v60, -v1
	v_add_u32_e32 v6, 0x6000, v96
	v_mul_f32_e32 v4, v23, v65
	v_mul_f32_e32 v5, v22, v65
	ds_write2_b64 v6, v[2:3], v[0:1] offset0:53 offset1:178
	s_waitcnt vmcnt(12)
	v_mul_f32_e32 v0, v29, v59
	v_mul_f32_e32 v1, v28, v59
	v_fmac_f32_e32 v4, v22, v64
	v_fma_f32 v5, v23, v64, -v5
	v_fmac_f32_e32 v0, v28, v58
	v_fma_f32 v1, v29, v58, -v1
	v_add_u32_e32 v2, 0x1400, v96
	v_accvgpr_write_b32 a70, v6
	ds_write2_b64 v2, v[4:5], v[0:1] offset0:110 offset1:235
	s_waitcnt vmcnt(11)
	v_mul_f32_e32 v0, v31, v63
	v_mul_f32_e32 v1, v30, v63
	v_accvgpr_write_b32 a26, v56
	v_accvgpr_write_b32 a69, v10
	s_waitcnt vmcnt(6)
	v_mul_f32_e32 v6, v15, v47
	v_mul_f32_e32 v7, v14, v47
	v_fmac_f32_e32 v0, v30, v62
	v_fma_f32 v1, v31, v62, -v1
	v_fmac_f32_e32 v6, v14, v46
	v_fma_f32 v7, v15, v46, -v7
	v_add_u32_e32 v10, 0x4000, v96
	v_accvgpr_write_b32 a27, v57
	v_mov_b32_e32 v56, v2
	v_mul_f32_e32 v2, v33, v55
	v_mul_f32_e32 v3, v32, v55
	ds_write2_b64 v10, v[0:1], v[6:7] offset0:77 offset1:202
	s_waitcnt vmcnt(4)
	v_mul_f32_e32 v0, v37, v51
	v_mul_f32_e32 v1, v36, v51
	v_fmac_f32_e32 v2, v32, v54
	v_fma_f32 v3, v33, v54, -v3
	v_fmac_f32_e32 v0, v36, v50
	v_fma_f32 v1, v37, v50, -v1
	v_add_u32_e32 v6, 0x6800, v96
	v_mul_f32_e32 v4, v35, v53
	v_mul_f32_e32 v5, v34, v53
	ds_write2_b64 v6, v[2:3], v[0:1] offset0:47 offset1:172
	s_waitcnt vmcnt(3)
	v_mul_f32_e32 v0, v21, v43
	v_mul_f32_e32 v1, v20, v43
	v_fmac_f32_e32 v4, v34, v52
	v_fma_f32 v5, v35, v52, -v5
	v_fmac_f32_e32 v0, v20, v42
	v_fma_f32 v1, v21, v42, -v1
	v_add_u32_e32 v2, 0x1c00, v96
	ds_write2_b64 v2, v[4:5], v[0:1] offset0:104 offset1:229
	s_waitcnt vmcnt(2)
	v_mul_f32_e32 v0, v39, v45
	v_mul_f32_e32 v1, v38, v45
	v_fmac_f32_e32 v0, v38, v44
	v_fma_f32 v1, v39, v44, -v1
	ds_write_b64 v96, v[0:1] offset:19000
	s_waitcnt vmcnt(0)
	v_mul_f32_e32 v0, v9, v49
	v_mul_f32_e32 v1, v8, v49
	v_fmac_f32_e32 v0, v8, v48
	v_fma_f32 v1, v9, v48, -v1
	v_add_u32_e32 v8, 0x2400, v96
	v_accvgpr_write_b32 a73, v6
	ds_write_b64 v96, v[0:1] offset:29000
	s_waitcnt lgkmcnt(0)
	s_barrier
	ds_read2_b64 v[4:7], v8 offset0:98 offset1:223
	v_mov_b32_e32 v93, v8
	v_add_u32_e32 v8, 0x4c00, v96
	v_accvgpr_write_b32 a18, v62
	v_accvgpr_write_b32 a72, v10
	ds_read2_b64 v[10:13], v8 offset0:68 offset1:193
	v_add_u32_e32 v22, 0x2c00, v96
	v_accvgpr_write_b32 a19, v63
	v_mov_b32_e32 v62, v2
	ds_read2_b64 v[0:3], v96 offset1:125
	ds_read2_b64 v[14:17], v74 offset0:122 offset1:247
	ds_read2_b64 v[18:21], v22 offset0:92 offset1:217
	v_add_u32_e32 v28, 0x5400, v96
	v_mov_b32_e32 v90, v22
	ds_read2_b64 v[22:25], v28 offset0:62 offset1:187
	v_accvgpr_write_b32 a28, v64
	v_mov_b32_e32 v92, v8
	v_mul_lo_u16_e32 v8, 3, v224
	s_waitcnt lgkmcnt(4)
	v_pk_add_f32 v[26:27], v[6:7], v[12:13]
	v_accvgpr_write_b32 a29, v65
	v_lshlrev_b32_e32 v65, 3, v8
	s_waitcnt lgkmcnt(3)
	v_pk_add_f32 v[8:9], v[2:3], v[6:7]
	v_pk_fma_f32 v[34:35], v[26:27], 0.5, v[2:3] op_sel_hi:[1,0,1] neg_lo:[1,0,0] neg_hi:[1,0,0]
	s_waitcnt lgkmcnt(1)
	v_pk_add_f32 v[2:3], v[14:15], v[18:19]
	v_accvgpr_write_b32 a6, v44
	s_waitcnt lgkmcnt(0)
	v_pk_add_f32 v[36:37], v[2:3], v[22:23]
	v_pk_add_f32 v[2:3], v[18:19], v[22:23]
	v_accvgpr_write_b32 a7, v45
	v_pk_fma_f32 v[38:39], v[2:3], 0.5, v[14:15] op_sel_hi:[1,0,1] neg_lo:[1,0,0] neg_hi:[1,0,0]
	v_pk_add_f32 v[2:3], v[16:17], v[20:21]
	v_pk_add_f32 v[8:9], v[8:9], v[12:13]
	v_pk_add_f32 v[44:45], v[2:3], v[24:25]
	v_add_u32_e32 v2, 0x3400, v96
	v_mov_b32_e32 v203, v28
	v_pk_add_f32 v[6:7], v[6:7], v[12:13] neg_lo:[0,1] neg_hi:[0,1]
	ds_read2_b64 v[12:15], v70 offset0:116 offset1:241
	ds_read2_b64 v[26:29], v2 offset0:86 offset1:211
	v_mov_b32_e32 v189, v2
	v_add_u32_e32 v2, 0x5c00, v96
	ds_read2_b64 v[30:33], v2 offset0:56 offset1:181
	v_accvgpr_write_b32 a12, v46
	v_mov_b32_e32 v201, v2
	v_pk_add_f32 v[2:3], v[20:21], v[24:25]
	v_accvgpr_write_b32 a13, v47
	v_accvgpr_write_b32 a10, v50
	v_pk_fma_f32 v[46:47], v[2:3], 0.5, v[16:17] op_sel_hi:[1,0,1] neg_lo:[1,0,0] neg_hi:[1,0,0]
	s_waitcnt lgkmcnt(1)
	v_pk_add_f32 v[2:3], v[12:13], v[26:27]
	v_accvgpr_write_b32 a14, v52
	v_accvgpr_write_b32 a11, v51
	s_waitcnt lgkmcnt(0)
	v_pk_add_f32 v[50:51], v[2:3], v[30:31]
	v_pk_add_f32 v[2:3], v[26:27], v[30:31]
	v_accvgpr_write_b32 a16, v54
	v_accvgpr_write_b32 a15, v53
	v_pk_fma_f32 v[52:53], v[2:3], 0.5, v[12:13] op_sel_hi:[1,0,1] neg_lo:[1,0,0] neg_hi:[1,0,0]
	v_pk_add_f32 v[2:3], v[14:15], v[28:29]
	v_accvgpr_write_b32 a17, v55
	v_accvgpr_write_b32 a8, v42
	;; [unrolled: 1-line block ×3, first 2 shown]
	v_pk_add_f32 v[54:55], v[2:3], v[32:33]
	v_add_u32_e32 v2, 0x3c00, v96
	v_accvgpr_write_b32 a9, v43
	v_accvgpr_write_b32 a5, v49
	v_pk_add_f32 v[42:43], v[18:19], v[22:23] neg_lo:[0,1] neg_hi:[0,1]
	v_pk_add_f32 v[48:49], v[20:21], v[24:25] neg_lo:[0,1] neg_hi:[0,1]
	ds_read2_b64 v[16:19], v56 offset0:110 offset1:235
	ds_read2_b64 v[20:23], v2 offset0:80 offset1:205
	v_mov_b32_e32 v200, v2
	v_add_u32_e32 v2, 0x6400, v96
	v_pk_add_f32 v[30:31], v[26:27], v[30:31] neg_lo:[0,1] neg_hi:[0,1]
	ds_read2_b64 v[24:27], v2 offset0:50 offset1:175
	v_mov_b32_e32 v109, v2
	v_pk_add_f32 v[2:3], v[28:29], v[32:33]
	v_mov_b32_e32 v190, v56
	v_pk_fma_f32 v[56:57], v[2:3], 0.5, v[14:15] op_sel_hi:[1,0,1] neg_lo:[1,0,0] neg_hi:[1,0,0]
	s_waitcnt lgkmcnt(1)
	v_pk_add_f32 v[2:3], v[16:17], v[20:21]
	v_accvgpr_write_b32 a20, v58
	v_pk_add_f32 v[28:29], v[28:29], v[32:33] neg_lo:[0,1] neg_hi:[0,1]
	s_waitcnt lgkmcnt(0)
	v_pk_add_f32 v[32:33], v[2:3], v[24:25]
	v_pk_add_f32 v[2:3], v[20:21], v[24:25]
	v_accvgpr_write_b32 a21, v59
	v_pk_fma_f32 v[58:59], v[2:3], 0.5, v[16:17] op_sel_hi:[1,0,1] neg_lo:[1,0,0] neg_hi:[1,0,0]
	v_pk_add_f32 v[2:3], v[18:19], v[22:23]
	v_accvgpr_write_b32 a22, v60
	v_pk_add_f32 v[20:21], v[20:21], v[24:25] neg_lo:[0,1] neg_hi:[0,1]
	v_pk_add_f32 v[24:25], v[2:3], v[26:27]
	v_pk_add_f32 v[2:3], v[22:23], v[26:27]
	v_accvgpr_write_b32 a23, v61
	v_pk_fma_f32 v[60:61], v[2:3], 0.5, v[18:19] op_sel_hi:[1,0,1] neg_lo:[1,0,0] neg_hi:[1,0,0]
	v_add_u32_e32 v2, 0x4400, v96
	ds_read2_b64 v[16:19], v2 offset0:74 offset1:199
	v_mov_b32_e32 v111, v2
	v_pk_add_f32 v[2:3], v[4:5], v[10:11]
	s_mov_b32 s12, 0x3f5db3d7
	v_pk_add_f32 v[22:23], v[22:23], v[26:27] neg_lo:[0,1] neg_hi:[0,1]
	v_pk_fma_f32 v[26:27], v[2:3], 0.5, v[0:1] op_sel_hi:[1,0,1] neg_lo:[1,0,0] neg_hi:[1,0,0]
	v_pk_add_f32 v[0:1], v[0:1], v[4:5]
	v_pk_add_f32 v[4:5], v[4:5], v[10:11] neg_lo:[0,1] neg_hi:[0,1]
	ds_read2_b64 v[12:15], v62 offset0:104 offset1:229
	v_pk_mul_f32 v[4:5], v[4:5], s[12:13] op_sel_hi:[1,0]
	v_mov_b32_e32 v188, v62
	v_pk_add_f32 v[62:63], v[0:1], v[10:11]
	v_pk_add_f32 v[10:11], v[26:27], v[4:5] op_sel:[0,1] op_sel_hi:[1,0]
	v_pk_add_f32 v[4:5], v[26:27], v[4:5] op_sel:[0,1] op_sel_hi:[1,0] neg_lo:[0,1] neg_hi:[0,1]
	v_add_u32_e32 v64, 0x6c00, v96
	v_mov_b32_e32 v26, v10
	v_mov_b32_e32 v27, v5
	v_pk_mul_f32 v[6:7], v[6:7], s[12:13] op_sel_hi:[1,0]
	ds_read2_b64 v[0:3], v64 offset0:44 offset1:169
	s_waitcnt lgkmcnt(0)
	s_barrier
	ds_write2_b64 v65, v[62:63], v[26:27] offset1:1
	v_pk_add_f32 v[26:27], v[34:35], v[6:7] op_sel:[0,1] op_sel_hi:[1,0]
	v_pk_add_f32 v[6:7], v[34:35], v[6:7] op_sel:[0,1] op_sel_hi:[1,0] neg_lo:[0,1] neg_hi:[0,1]
	v_mov_b32_e32 v5, v11
	v_mul_u32_u24_e32 v10, 3, v110
	s_mov_b64 s[2:3], 0x177
	v_lshlrev_b32_e32 v10, 3, v10
	ds_write_b64 v65, v[4:5] offset:16
	v_mov_b32_e32 v4, v26
	v_mov_b32_e32 v5, v7
	v_lshl_add_u64 v[128:129], v[224:225], 0, s[2:3]
	s_mov_b64 s[2:3], 0x1f4
	ds_write2_b64 v10, v[8:9], v[4:5] offset1:1
	v_pk_mul_f32 v[4:5], v[42:43], s[12:13] op_sel_hi:[1,0]
	v_mov_b32_e32 v202, v64
	v_lshl_add_u64 v[126:127], v[224:225], 0, s[2:3]
	s_mov_b64 s[2:3], 0x271
	v_mov_b32_e32 v64, v10
	v_pk_add_f32 v[8:9], v[38:39], v[4:5] op_sel:[0,1] op_sel_hi:[1,0]
	v_pk_add_f32 v[4:5], v[38:39], v[4:5] op_sel:[0,1] op_sel_hi:[1,0] neg_lo:[0,1] neg_hi:[0,1]
	v_mov_b32_e32 v7, v27
	v_mul_u32_u24_e32 v26, 3, v108
	v_lshl_add_u64 v[124:125], v[224:225], 0, s[2:3]
	v_lshlrev_b32_e32 v27, 3, v26
	ds_write_b64 v64, v[6:7] offset:16
	v_mov_b32_e32 v6, v8
	v_mov_b32_e32 v7, v5
	v_mul_u32_u24_e32 v5, 3, v126
	v_accvgpr_write_b32 a36, v66
	v_add_u32_e32 v62, 0x2ee, v224
	v_mul_u32_u24_e32 v26, 3, v128
	v_accvgpr_write_b32 a68, v64
	ds_write2_b64 v27, v[36:37], v[6:7] offset1:1
	v_lshlrev_b32_e32 v64, 3, v5
	v_pk_mul_f32 v[6:7], v[30:31], s[12:13] op_sel_hi:[1,0]
	v_mul_u32_u24_e32 v5, 3, v124
	v_accvgpr_write_b32 a37, v67
	v_accvgpr_write_b32 a1, v65
	v_add_u32_e32 v63, 0x36b, v224
	v_lshlrev_b32_e32 v65, 3, v26
	v_mov_b32_e32 v66, v27
	v_pk_add_f32 v[26:27], v[52:53], v[6:7] op_sel:[0,1] op_sel_hi:[1,0]
	v_pk_add_f32 v[6:7], v[52:53], v[6:7] op_sel:[0,1] op_sel_hi:[1,0] neg_lo:[0,1] neg_hi:[0,1]
	v_lshlrev_b32_e32 v52, 3, v5
	v_mul_u32_u24_e32 v5, 3, v62
	v_pk_mul_f32 v[10:11], v[48:49], s[12:13] op_sel_hi:[1,0]
	v_add_u32_e32 v42, 0x3e8, v224
	v_lshlrev_b32_e32 v49, 3, v5
	v_mul_u32_u24_e32 v5, 3, v63
	v_lshlrev_b32_e32 v48, 3, v5
	v_mul_u32_u24_e32 v5, 3, v42
	v_pk_add_f32 v[34:35], v[46:47], v[10:11] op_sel:[0,1] op_sel_hi:[1,0]
	v_pk_add_f32 v[10:11], v[46:47], v[10:11] op_sel:[0,1] op_sel_hi:[1,0] neg_lo:[0,1] neg_hi:[0,1]
	v_lshlrev_b32_e32 v47, 3, v5
	v_mov_b32_e32 v5, v9
	v_pk_mul_f32 v[28:29], v[28:29], s[12:13] op_sel_hi:[1,0]
	ds_write_b64 v66, v[4:5] offset:16
	v_mov_b32_e32 v5, v11
	v_mov_b32_e32 v11, v35
	v_pk_add_f32 v[30:31], v[56:57], v[28:29] op_sel:[0,1] op_sel_hi:[1,0]
	v_pk_add_f32 v[28:29], v[56:57], v[28:29] op_sel:[0,1] op_sel_hi:[1,0] neg_lo:[0,1] neg_hi:[0,1]
	v_pk_mul_f32 v[20:21], v[20:21], s[12:13] op_sel_hi:[1,0]
	v_pk_add_f32 v[42:43], v[12:13], v[16:17]
	v_mov_b32_e32 v4, v34
	ds_write_b64 v65, v[10:11] offset:16
	v_mov_b32_e32 v11, v7
	v_mov_b32_e32 v7, v27
	v_pk_add_f32 v[36:37], v[58:59], v[20:21] op_sel:[0,1] op_sel_hi:[1,0]
	v_pk_add_f32 v[20:21], v[58:59], v[20:21] op_sel:[0,1] op_sel_hi:[1,0] neg_lo:[0,1] neg_hi:[0,1]
	v_pk_mul_f32 v[22:23], v[22:23], s[12:13] op_sel_hi:[1,0]
	v_pk_add_f32 v[42:43], v[42:43], v[0:1]
	v_pk_add_f32 v[8:9], v[16:17], v[0:1]
	ds_write2_b64 v65, v[44:45], v[4:5] offset1:1
	v_pk_add_f32 v[0:1], v[16:17], v[0:1] neg_lo:[0,1] neg_hi:[0,1]
	v_mov_b32_e32 v10, v26
	ds_write_b64 v64, v[6:7] offset:16
	v_mov_b32_e32 v6, v30
	v_mov_b32_e32 v7, v29
	v_add_u32_e32 v46, 0x465, v224
	v_pk_add_f32 v[38:39], v[60:61], v[22:23] op_sel:[0,1] op_sel_hi:[1,0]
	v_pk_add_f32 v[22:23], v[60:61], v[22:23] op_sel:[0,1] op_sel_hi:[1,0] neg_lo:[0,1] neg_hi:[0,1]
	v_pk_fma_f32 v[8:9], v[8:9], 0.5, v[12:13] op_sel_hi:[1,0,1] neg_lo:[1,0,0] neg_hi:[1,0,0]
	v_pk_mul_f32 v[0:1], v[0:1], s[12:13] op_sel_hi:[1,0]
	ds_write2_b64 v64, v[50:51], v[10:11] offset1:1
	ds_write2_b64 v52, v[54:55], v[6:7] offset1:1
	v_mov_b32_e32 v29, v31
	v_mov_b32_e32 v6, v36
	;; [unrolled: 1-line block ×3, first 2 shown]
	v_pk_add_f32 v[4:5], v[8:9], v[0:1] op_sel:[0,1] op_sel_hi:[1,0]
	v_pk_add_f32 v[0:1], v[8:9], v[0:1] op_sel:[0,1] op_sel_hi:[1,0] neg_lo:[0,1] neg_hi:[0,1]
	v_mul_u32_u24_e32 v8, 3, v46
	ds_write_b64 v52, v[28:29] offset:16
	ds_write2_b64 v49, v[32:33], v[6:7] offset1:1
	v_mov_b32_e32 v21, v37
	v_mov_b32_e32 v6, v38
	;; [unrolled: 1-line block ×3, first 2 shown]
	v_lshlrev_b32_e32 v12, 3, v8
	v_pk_add_f32 v[8:9], v[14:15], v[18:19]
	ds_write_b64 v49, v[20:21] offset:16
	ds_write2_b64 v48, v[24:25], v[6:7] offset1:1
	v_mov_b32_e32 v23, v39
	v_mov_b32_e32 v7, v1
	v_mov_b32_e32 v1, v5
	v_pk_add_f32 v[8:9], v[8:9], v[2:3]
	ds_write_b64 v48, v[22:23] offset:16
	ds_write_b64 v47, v[0:1] offset:16
	v_pk_add_f32 v[0:1], v[18:19], v[2:3]
	v_pk_add_f32 v[2:3], v[18:19], v[2:3] neg_lo:[0,1] neg_hi:[0,1]
	v_pk_fma_f32 v[0:1], v[0:1], 0.5, v[14:15] op_sel_hi:[1,0,1] neg_lo:[1,0,0] neg_hi:[1,0,0]
	v_pk_mul_f32 v[2:3], v[2:3], s[12:13] op_sel_hi:[1,0]
	v_mov_b32_e32 v6, v4
	v_pk_add_f32 v[4:5], v[0:1], v[2:3] op_sel:[0,1] op_sel_hi:[1,0]
	v_pk_add_f32 v[0:1], v[0:1], v[2:3] op_sel:[0,1] op_sel_hi:[1,0] neg_lo:[0,1] neg_hi:[0,1]
	s_mov_b32 s2, 0xaaab
	v_mov_b32_e32 v3, v1
	v_mov_b32_e32 v1, v5
	ds_write2_b64 v47, v[42:43], v[6:7] offset1:1
	ds_write_b64 v12, v[0:1] offset:16
	v_mul_u32_u24_sdwa v0, v124, s2 dst_sel:DWORD dst_unused:UNUSED_PAD src0_sel:WORD_0 src1_sel:DWORD
	v_lshrrev_b32_e32 v18, 17, v0
	v_mul_lo_u16_e32 v0, 3, v18
	v_sub_u16_e32 v19, v124, v0
	v_lshlrev_b16_e32 v0, 2, v19
	v_mov_b32_e32 v2, v4
	v_lshlrev_b32_e32 v0, 3, v0
	ds_write2_b64 v12, v[8:9], v[2:3] offset1:1
	s_waitcnt lgkmcnt(0)
	s_barrier
	global_load_dwordx4 v[42:45], v0, s[10:11]
	v_mul_u32_u24_sdwa v1, v126, s2 dst_sel:DWORD dst_unused:UNUSED_PAD src0_sel:WORD_0 src1_sel:DWORD
	v_lshrrev_b32_e32 v20, 17, v1
	v_mul_lo_u16_e32 v1, 3, v20
	v_sub_u16_e32 v21, v126, v1
	v_lshlrev_b16_e32 v1, 2, v21
	v_lshlrev_b32_e32 v1, 3, v1
	global_load_dwordx4 v[36:39], v1, s[10:11]
	global_load_dwordx4 v[32:35], v0, s[10:11] offset:16
                                        ; kill: killed $vgpr0
	global_load_dwordx4 v[28:31], v1, s[10:11] offset:16
	v_mul_u32_u24_sdwa v1, v128, s2 dst_sel:DWORD dst_unused:UNUSED_PAD src0_sel:WORD_0 src1_sel:DWORD
	v_lshrrev_b32_e32 v22, 17, v1
	v_mul_lo_u16_e32 v1, 3, v22
	v_sub_u16_e32 v23, v128, v1
	v_lshlrev_b16_e32 v1, 2, v23
	v_lshlrev_b32_e32 v1, 3, v1
	v_accvgpr_write_b32 a76, v49
	v_accvgpr_write_b32 a75, v48
	v_mul_u32_u24_sdwa v0, v108, s2 dst_sel:DWORD dst_unused:UNUSED_PAD src0_sel:WORD_0 src1_sel:DWORD
	global_load_dwordx4 v[48:51], v1, s[10:11]
	v_lshrrev_b32_e32 v24, 17, v0
	v_mul_lo_u16_e32 v0, 3, v24
	v_sub_u16_e32 v25, v108, v0
	v_lshlrev_b16_e32 v0, 2, v25
	v_lshlrev_b32_e32 v0, 3, v0
	global_load_dwordx4 v[82:85], v0, s[10:11]
	global_load_dwordx4 v[102:105], v1, s[10:11] offset:16
	global_load_dwordx4 v[98:101], v0, s[10:11] offset:16
	s_movk_i32 s2, 0xab
	v_mul_lo_u16_sdwa v0, v110, s2 dst_sel:DWORD dst_unused:UNUSED_PAD src0_sel:BYTE_0 src1_sel:DWORD
	v_lshrrev_b16_e32 v46, 9, v0
	v_mul_lo_u16_e32 v0, 3, v46
	v_sub_u16_e32 v0, v110, v0
	v_accvgpr_write_b32 a74, v47
	v_and_b32_e32 v47, 0xff, v0
	v_lshlrev_b32_e32 v26, 5, v47
	v_accvgpr_write_b32 a79, v12
	global_load_dwordx4 v[112:115], v26, s[10:11]
	ds_read2_b64 v[4:7], v93 offset0:98 offset1:223
	ds_read2_b64 v[10:13], v200 offset0:80 offset1:205
	;; [unrolled: 1-line block ×3, first 2 shown]
	v_accvgpr_write_b32 a77, v52
	v_accvgpr_write_b32 a71, v66
	;; [unrolled: 1-line block ×4, first 2 shown]
	v_mov_b32_e32 v91, v74
	v_accvgpr_write_b32 a153, v77
	v_accvgpr_write_b32 a152, v76
	v_mov_b32_e32 v162, v70
	v_accvgpr_write_b32 a40, v72
	v_accvgpr_write_b32 a67, v65
	;; [unrolled: 1-line block ×4, first 2 shown]
	s_mov_b32 s6, 0x3f737871
	s_mov_b32 s17, s6
	v_mov_b32_e32 v125, v97
	s_waitcnt vmcnt(8) lgkmcnt(2)
	v_pk_mul_f32 v[0:1], v[6:7], v[42:43] op_sel:[0,1]
	s_nop 0
	v_pk_fma_f32 v[2:3], v[6:7], v[42:43], v[0:1] op_sel:[0,0,1] op_sel_hi:[1,1,0] neg_lo:[0,0,1] neg_hi:[0,0,1]
	v_pk_fma_f32 v[58:59], v[6:7], v[42:43], v[0:1] op_sel:[0,0,1] op_sel_hi:[1,0,0]
	v_mov_b32_e32 v6, v45
	s_waitcnt lgkmcnt(1)
	v_pk_mul_f32 v[0:1], v[12:13], v[6:7] op_sel_hi:[1,0]
	s_waitcnt vmcnt(7)
	v_accvgpr_write_b32 a127, v39
	v_pk_fma_f32 v[52:53], v[12:13], v[44:45], v[0:1] op_sel:[0,0,1] op_sel_hi:[1,1,0] neg_lo:[0,0,1] neg_hi:[0,0,1]
	v_pk_fma_f32 v[60:61], v[12:13], v[44:45], v[0:1] op_sel:[0,0,1] op_sel_hi:[1,0,0]
	v_pk_mul_f32 v[0:1], v[4:5], v[36:37] op_sel:[0,1]
	s_waitcnt vmcnt(5) lgkmcnt(0)
	v_pk_mul_f32 v[8:9], v[14:15], v[28:29] op_sel:[0,1]
	v_pk_fma_f32 v[66:67], v[4:5], v[36:37], v[0:1] op_sel:[0,0,1] op_sel_hi:[1,1,0] neg_lo:[0,0,1] neg_hi:[0,0,1]
	v_pk_fma_f32 v[0:1], v[4:5], v[36:37], v[0:1] op_sel:[0,0,1] op_sel_hi:[1,0,0]
	v_pk_fma_f32 v[70:71], v[14:15], v[28:29], v[8:9] op_sel:[0,0,1] op_sel_hi:[1,1,0] neg_lo:[0,0,1] neg_hi:[0,0,1]
	v_mov_b32_e32 v0, v39
	v_pk_mul_f32 v[4:5], v[10:11], v[0:1] op_sel_hi:[1,0]
	v_mov_b32_e32 v0, v35
	v_pk_fma_f32 v[68:69], v[10:11], v[38:39], v[4:5] op_sel:[0,0,1] op_sel_hi:[1,1,0] neg_lo:[0,0,1] neg_hi:[0,0,1]
	v_pk_fma_f32 v[74:75], v[10:11], v[38:39], v[4:5] op_sel:[0,0,1] op_sel_hi:[1,0,0]
	v_pk_mul_f32 v[4:5], v[16:17], v[32:33] op_sel:[0,1]
	ds_read2_b64 v[10:13], v188 offset0:104 offset1:229
	v_pk_fma_f32 v[54:55], v[16:17], v[32:33], v[4:5] op_sel:[0,0,1] op_sel_hi:[1,1,0] neg_lo:[0,0,1] neg_hi:[0,0,1]
	v_pk_fma_f32 v[62:63], v[16:17], v[32:33], v[4:5] op_sel:[0,0,1] op_sel_hi:[1,0,0]
	ds_read2_b64 v[4:7], v202 offset0:44 offset1:169
	v_pk_fma_f32 v[76:77], v[14:15], v[28:29], v[8:9] op_sel:[0,0,1] op_sel_hi:[1,0,0]
	v_accvgpr_write_b32 a114, v30
	v_accvgpr_write_b32 a120, v31
	;; [unrolled: 1-line block ×3, first 2 shown]
	s_waitcnt lgkmcnt(0)
	v_pk_mul_f32 v[8:9], v[6:7], v[0:1] op_sel_hi:[1,0]
	v_mov_b32_e32 v0, v31
	v_pk_fma_f32 v[56:57], v[6:7], v[34:35], v[8:9] op_sel:[0,0,1] op_sel_hi:[1,1,0] neg_lo:[0,0,1] neg_hi:[0,0,1]
	v_pk_fma_f32 v[64:65], v[6:7], v[34:35], v[8:9] op_sel:[0,0,1] op_sel_hi:[1,0,0]
	v_pk_mul_f32 v[6:7], v[4:5], v[0:1] op_sel_hi:[1,0]
	v_accvgpr_write_b32 a112, v28
	v_pk_fma_f32 v[72:73], v[4:5], v[30:31], v[6:7] op_sel:[0,0,1] op_sel_hi:[1,1,0] neg_lo:[0,0,1] neg_hi:[0,0,1]
	v_pk_fma_f32 v[78:79], v[4:5], v[30:31], v[6:7] op_sel:[0,0,1] op_sel_hi:[1,0,0]
	s_waitcnt vmcnt(4)
	v_pk_mul_f32 v[4:5], v[12:13], v[48:49] op_sel:[0,1]
	s_waitcnt vmcnt(3)
	v_mov_b64_e32 v[28:29], v[82:83]
	v_pk_fma_f32 v[80:81], v[12:13], v[48:49], v[4:5] op_sel:[0,0,1] op_sel_hi:[1,1,0] neg_lo:[0,0,1] neg_hi:[0,0,1]
	v_pk_fma_f32 v[88:89], v[12:13], v[48:49], v[4:5] op_sel:[0,0,1] op_sel_hi:[1,0,0]
	ds_read2_b64 v[12:15], v189 offset0:86 offset1:211
	v_pk_mul_f32 v[4:5], v[10:11], v[28:29] op_sel:[0,1]
	v_mov_b32_e32 v0, v51
	v_pk_fma_f32 v[94:95], v[10:11], v[28:29], v[4:5] op_sel:[0,0,1] op_sel_hi:[1,1,0] neg_lo:[0,0,1] neg_hi:[0,0,1]
	v_pk_fma_f32 v[10:11], v[10:11], v[28:29], v[4:5] op_sel:[0,0,1] op_sel_hi:[1,0,0]
	s_waitcnt lgkmcnt(0)
	v_pk_mul_f32 v[4:5], v[14:15], v[0:1] op_sel_hi:[1,0]
	v_mov_b64_e32 v[30:31], v[84:85]
	v_pk_fma_f32 v[82:83], v[14:15], v[50:51], v[4:5] op_sel:[0,0,1] op_sel_hi:[1,1,0] neg_lo:[0,0,1] neg_hi:[0,0,1]
	v_pk_fma_f32 v[142:143], v[14:15], v[50:51], v[4:5] op_sel:[0,0,1] op_sel_hi:[1,0,0]
	ds_read2_b64 v[14:17], v92 offset0:68 offset1:193
	v_accvgpr_write_b32 a128, v39
	v_accvgpr_write_b32 a126, v38
	;; [unrolled: 1-line block ×4, first 2 shown]
	ds_read2_b64 v[36:39], v109 offset0:50 offset1:175
	v_mov_b32_e32 v0, v31
	v_pk_mul_f32 v[6:7], v[12:13], v[0:1] op_sel_hi:[1,0]
	v_accvgpr_write_b32 a88, v30
	v_accvgpr_write_b32 a90, v31
	v_pk_fma_f32 v[4:5], v[12:13], v[30:31], v[6:7] op_sel:[0,0,1] op_sel_hi:[1,1,0] neg_lo:[0,0,1] neg_hi:[0,0,1]
	v_pk_fma_f32 v[12:13], v[12:13], v[30:31], v[6:7] op_sel:[0,0,1] op_sel_hi:[1,0,0]
	v_accvgpr_write_b32 a87, v29
	v_accvgpr_write_b32 a86, v28
	s_waitcnt vmcnt(1)
	v_mov_b64_e32 v[28:29], v[98:99]
	v_accvgpr_write_b32 a148, v44
	s_waitcnt lgkmcnt(1)
	v_pk_mul_f32 v[6:7], v[16:17], v[102:103] op_sel:[0,1]
	v_mov_b64_e32 v[30:31], v[100:101]
	v_pk_mul_f32 v[8:9], v[14:15], v[28:29] op_sel:[0,1]
	v_mov_b32_e32 v0, v105
	v_accvgpr_write_b32 a150, v45
	v_accvgpr_write_b32 a147, v43
	;; [unrolled: 1-line block ×3, first 2 shown]
	v_pk_fma_f32 v[84:85], v[16:17], v[102:103], v[6:7] op_sel:[0,0,1] op_sel_hi:[1,1,0] neg_lo:[0,0,1] neg_hi:[0,0,1]
	v_pk_fma_f32 v[44:45], v[16:17], v[102:103], v[6:7] op_sel:[0,0,1] op_sel_hi:[1,0,0]
	v_pk_fma_f32 v[6:7], v[14:15], v[28:29], v[8:9] op_sel:[0,0,1] op_sel_hi:[1,1,0] neg_lo:[0,0,1] neg_hi:[0,0,1]
	v_pk_fma_f32 v[14:15], v[14:15], v[28:29], v[8:9] op_sel:[0,0,1] op_sel_hi:[1,0,0]
	s_waitcnt lgkmcnt(0)
	v_pk_mul_f32 v[8:9], v[38:39], v[0:1] op_sel_hi:[1,0]
	v_mov_b32_e32 v0, v31
	v_pk_fma_f32 v[86:87], v[38:39], v[104:105], v[8:9] op_sel:[0,0,1] op_sel_hi:[1,1,0] neg_lo:[0,0,1] neg_hi:[0,0,1]
	v_pk_fma_f32 v[38:39], v[38:39], v[104:105], v[8:9] op_sel:[0,0,1] op_sel_hi:[1,0,0]
	v_pk_mul_f32 v[8:9], v[36:37], v[0:1] op_sel_hi:[1,0]
	v_mul_lo_u16_sdwa v0, v224, s2 dst_sel:DWORD dst_unused:UNUSED_PAD src0_sel:BYTE_0 src1_sel:DWORD
	v_lshrrev_b16_e32 v0, 9, v0
	v_mul_lo_u16_e32 v3, 3, v0
	v_sub_u16_e32 v3, v224, v3
	v_and_b32_e32 v3, 0xff, v3
	v_accvgpr_write_b32 a108, v50
	v_accvgpr_write_b32 a92, v102
	v_lshlrev_b32_e32 v5, 5, v3
	v_accvgpr_write_b32 a110, v51
	v_accvgpr_write_b32 a107, v49
	;; [unrolled: 1-line block ×6, first 2 shown]
	ds_read2_b64 v[48:51], v190 offset0:110 offset1:235
	global_load_dwordx4 v[104:107], v26, s[10:11] offset:16
	global_load_dwordx4 v[100:103], v5, s[10:11]
	global_load_dwordx4 v[130:133], v5, s[10:11] offset:16
	v_accvgpr_write_b32 a82, v30
	v_pk_fma_f32 v[98:99], v[36:37], v[30:31], v[8:9] op_sel:[0,0,1] op_sel_hi:[1,1,0] neg_lo:[0,0,1] neg_hi:[0,0,1]
	v_pk_fma_f32 v[16:17], v[36:37], v[30:31], v[8:9] op_sel:[0,0,1] op_sel_hi:[1,0,0]
	v_accvgpr_write_b32 a81, v29
	v_accvgpr_write_b32 a80, v28
	s_waitcnt vmcnt(3) lgkmcnt(0)
	v_pk_mul_f32 v[8:9], v[50:51], v[112:113] op_sel:[0,1]
	v_accvgpr_write_b32 a84, v31
	v_pk_fma_f32 v[26:27], v[50:51], v[112:113], v[8:9] op_sel:[0,0,1] op_sel_hi:[1,1,0] neg_lo:[0,0,1] neg_hi:[0,0,1]
	v_pk_fma_f32 v[8:9], v[50:51], v[112:113], v[8:9] op_sel:[0,0,1] op_sel_hi:[1,0,0]
	v_accvgpr_write_b32 a133, v35
	v_mov_b32_e32 v8, v115
	v_accvgpr_write_b32 a132, v34
	v_accvgpr_write_b32 a131, v33
	;; [unrolled: 1-line block ×8, first 2 shown]
	v_mul_u32_u24_e32 v0, 15, v0
	s_mov_b32 s2, 0x3e9e377a
	v_add_lshl_u32 v0, v0, v3, 3
	v_mov_b32_e32 v27, v9
	v_accvgpr_write_b32 a83, v0
	v_mov_b32_e32 v95, v11
	v_mov_b32_e32 v5, v13
	;; [unrolled: 1-line block ×4, first 2 shown]
	v_pk_add_f32 v[10:11], v[94:95], v[4:5] neg_lo:[0,1] neg_hi:[0,1]
	v_pk_add_f32 v[12:13], v[98:99], v[6:7] neg_lo:[0,1] neg_hi:[0,1]
	;; [unrolled: 1-line block ×3, first 2 shown]
	v_pk_add_f32 v[10:11], v[10:11], v[12:13]
	v_pk_add_f32 v[12:13], v[94:95], v[98:99] neg_lo:[0,1] neg_hi:[0,1]
	v_mov_b32_e32 v81, v89
	v_mov_b32_e32 v83, v143
	;; [unrolled: 1-line block ×12, first 2 shown]
	s_waitcnt vmcnt(1)
	v_pk_mul_f32 v[28:29], v[48:49], v[100:101] op_sel:[0,1]
	s_nop 0
	v_pk_fma_f32 v[30:31], v[48:49], v[100:101], v[28:29] op_sel:[0,0,1] op_sel_hi:[1,1,0] neg_lo:[0,0,1] neg_hi:[0,0,1]
	v_pk_fma_f32 v[28:29], v[48:49], v[100:101], v[28:29] op_sel:[0,0,1] op_sel_hi:[1,0,0]
	ds_read2_b64 v[48:51], v90 offset0:92 offset1:217
	v_accvgpr_write_b32 a118, v102
	v_accvgpr_write_b32 a117, v101
	;; [unrolled: 1-line block ×4, first 2 shown]
	s_waitcnt lgkmcnt(0)
	v_pk_mul_f32 v[32:33], v[50:51], v[8:9] op_sel_hi:[1,0]
	v_mov_b32_e32 v8, v103
	v_pk_mul_f32 v[42:43], v[48:49], v[8:9] op_sel_hi:[1,0]
	v_pk_fma_f32 v[34:35], v[50:51], v[114:115], v[32:33] op_sel:[0,0,1] op_sel_hi:[1,1,0] neg_lo:[0,0,1] neg_hi:[0,0,1]
	v_pk_fma_f32 v[32:33], v[50:51], v[114:115], v[32:33] op_sel:[0,0,1] op_sel_hi:[1,0,0]
	v_pk_fma_f32 v[112:113], v[48:49], v[102:103], v[42:43] op_sel:[0,0,1] op_sel_hi:[1,1,0] neg_lo:[0,0,1] neg_hi:[0,0,1]
	v_pk_fma_f32 v[42:43], v[48:49], v[102:103], v[42:43] op_sel:[0,0,1] op_sel_hi:[1,0,0]
	ds_read2_b64 v[48:51], v111 offset0:74 offset1:199
	v_mov_b32_e32 v8, v107
	v_accvgpr_write_b32 a98, v104
	v_accvgpr_write_b32 a99, v105
	;; [unrolled: 1-line block ×3, first 2 shown]
	s_waitcnt lgkmcnt(0)
	v_pk_mul_f32 v[100:101], v[50:51], v[104:105] op_sel:[0,1]
	v_mov_b32_e32 v31, v29
	v_pk_fma_f32 v[114:115], v[50:51], v[104:105], v[100:101] op_sel:[0,0,1] op_sel_hi:[1,1,0] neg_lo:[0,0,1] neg_hi:[0,0,1]
	v_pk_fma_f32 v[116:117], v[50:51], v[104:105], v[100:101] op_sel:[0,0,1] op_sel_hi:[1,0,0]
	s_waitcnt vmcnt(0)
	v_pk_mul_f32 v[50:51], v[48:49], v[130:131] op_sel:[0,1]
	v_mov_b32_e32 v113, v43
	v_pk_fma_f32 v[118:119], v[48:49], v[130:131], v[50:51] op_sel:[0,0,1] op_sel_hi:[1,1,0] neg_lo:[0,0,1] neg_hi:[0,0,1]
	v_pk_fma_f32 v[100:101], v[48:49], v[130:131], v[50:51] op_sel:[0,0,1] op_sel_hi:[1,0,0]
	ds_read2_b64 v[48:51], v201 offset0:56 offset1:181
	v_mov_b32_e32 v119, v101
	v_pk_add_f32 v[28:29], v[30:31], v[112:113] neg_lo:[0,1] neg_hi:[0,1]
	v_pk_add_f32 v[134:135], v[112:113], v[118:119] neg_lo:[0,1] neg_hi:[0,1]
	v_mov_b32_e32 v35, v33
	s_waitcnt lgkmcnt(0)
	v_pk_mul_f32 v[102:103], v[50:51], v[8:9] op_sel_hi:[1,0]
	v_mov_b32_e32 v115, v117
	v_pk_fma_f32 v[120:121], v[50:51], v[106:107], v[102:103] op_sel:[0,0,1] op_sel_hi:[1,1,0] neg_lo:[0,0,1] neg_hi:[0,0,1]
	v_pk_fma_f32 v[122:123], v[50:51], v[106:107], v[102:103] op_sel:[0,0,1] op_sel_hi:[1,0,0]
	v_mov_b64_e32 v[102:103], v[130:131]
	v_mov_b64_e32 v[104:105], v[132:133]
	v_mov_b32_e32 v8, v105
	v_accvgpr_write_b32 a102, v102
	v_pk_mul_f32 v[50:51], v[48:49], v[8:9] op_sel_hi:[1,0]
	v_accvgpr_write_b32 a103, v103
	v_accvgpr_write_b32 a104, v104
	ds_read2_b64 v[100:103], v96 offset1:125
	v_pk_fma_f32 v[130:131], v[48:49], v[104:105], v[50:51] op_sel:[0,0,1] op_sel_hi:[1,1,0] neg_lo:[0,0,1] neg_hi:[0,0,1]
	v_pk_fma_f32 v[48:49], v[48:49], v[104:105], v[50:51] op_sel:[0,0,1] op_sel_hi:[1,0,0]
	v_mov_b32_e32 v121, v123
	v_mov_b32_e32 v131, v49
	v_pk_add_f32 v[42:43], v[130:131], v[118:119] neg_lo:[0,1] neg_hi:[0,1]
	v_pk_add_f32 v[132:133], v[30:31], v[130:131] neg_lo:[0,1] neg_hi:[0,1]
	v_pk_add_f32 v[28:29], v[28:29], v[42:43]
	v_pk_add_f32 v[42:43], v[112:113], v[118:119]
	v_pk_mul_f32 v[48:49], v[132:133], s[6:7] op_sel_hi:[1,0]
	s_waitcnt lgkmcnt(0)
	v_pk_fma_f32 v[42:43], v[42:43], 0.5, v[100:101] op_sel_hi:[1,0,1] neg_lo:[1,0,0] neg_hi:[1,0,0]
	v_accvgpr_write_b32 a138, v107
	v_pk_add_f32 v[50:51], v[42:43], v[48:49] op_sel:[0,1] op_sel_hi:[1,0]
	v_pk_add_f32 v[42:43], v[42:43], v[48:49] op_sel:[0,1] op_sel_hi:[1,0] neg_lo:[0,1] neg_hi:[0,1]
	v_pk_mul_f32 v[48:49], v[134:135], s[8:9] op_sel_hi:[1,0]
	v_accvgpr_write_b32 a136, v105
	v_pk_add_f32 v[42:43], v[42:43], v[48:49] op_sel:[0,1] op_sel_hi:[1,0] neg_lo:[0,1] neg_hi:[0,1]
	v_pk_add_f32 v[136:137], v[50:51], v[48:49] op_sel:[0,1] op_sel_hi:[1,0]
	v_pk_add_f32 v[48:49], v[100:101], v[30:31]
	v_mov_b32_e32 v141, v43
	v_pk_add_f32 v[48:49], v[48:49], v[112:113]
	v_pk_add_f32 v[112:113], v[112:113], v[30:31] neg_lo:[0,1] neg_hi:[0,1]
	v_pk_add_f32 v[30:31], v[30:31], v[130:131]
	v_pk_add_f32 v[48:49], v[48:49], v[118:119]
	v_pk_add_f32 v[118:119], v[118:119], v[130:131] neg_lo:[0,1] neg_hi:[0,1]
	v_pk_fma_f32 v[30:31], v[30:31], 0.5, v[100:101] op_sel_hi:[1,0,1] neg_lo:[1,0,0] neg_hi:[1,0,0]
	v_pk_mul_f32 v[100:101], v[134:135], s[6:7] op_sel_hi:[1,0]
	v_pk_add_f32 v[112:113], v[112:113], v[118:119]
	v_pk_add_f32 v[118:119], v[30:31], v[100:101] op_sel:[0,1] op_sel_hi:[1,0] neg_lo:[0,1] neg_hi:[0,1]
	v_pk_add_f32 v[30:31], v[30:31], v[100:101] op_sel:[0,1] op_sel_hi:[1,0]
	v_pk_mul_f32 v[100:101], v[132:133], s[8:9] op_sel_hi:[1,0]
	v_mov_b32_e32 v43, v137
	v_pk_add_f32 v[30:31], v[30:31], v[100:101] op_sel:[0,1] op_sel_hi:[1,0] neg_lo:[0,1] neg_hi:[0,1]
	v_pk_add_f32 v[100:101], v[118:119], v[100:101] op_sel:[0,1] op_sel_hi:[1,0]
	v_mov_b32_e32 v140, v136
	v_mov_b32_e32 v118, v100
	;; [unrolled: 1-line block ×4, first 2 shown]
	v_pk_fma_f32 v[8:9], v[28:29], s[2:3], v[42:43] op_sel_hi:[1,0,1]
	v_pk_add_f32 v[138:139], v[48:49], v[130:131]
	ds_read2_b64 v[48:51], v162 offset0:116 offset1:241
	ds_read2_b64 v[104:107], v91 offset0:122 offset1:247
	s_waitcnt lgkmcnt(0)
	s_barrier
	v_pk_fma_f32 v[140:141], v[28:29], s[2:3], v[140:141] op_sel_hi:[1,0,1]
	v_pk_fma_f32 v[100:101], v[112:113], s[2:3], v[118:119] op_sel_hi:[1,0,1]
	;; [unrolled: 1-line block ×3, first 2 shown]
	ds_write_b64 v0, v[8:9] offset:96
	v_pk_add_f32 v[8:9], v[26:27], v[34:35] neg_lo:[0,1] neg_hi:[0,1]
	v_pk_add_f32 v[28:29], v[120:121], v[114:115] neg_lo:[0,1] neg_hi:[0,1]
	ds_write2_b64 v0, v[100:101], v[30:31] offset0:6 offset1:9
	v_pk_add_f32 v[8:9], v[8:9], v[28:29]
	v_pk_add_f32 v[28:29], v[34:35], v[114:115]
	v_pk_add_f32 v[30:31], v[26:27], v[120:121] neg_lo:[0,1] neg_hi:[0,1]
	v_pk_fma_f32 v[28:29], v[28:29], 0.5, v[102:103] op_sel_hi:[1,0,1] neg_lo:[1,0,0] neg_hi:[1,0,0]
	v_pk_mul_f32 v[32:33], v[30:31], s[6:7] op_sel_hi:[1,0]
	ds_write2_b64 v0, v[138:139], v[140:141] offset1:3
	v_pk_add_f32 v[42:43], v[28:29], v[32:33] op_sel:[0,1] op_sel_hi:[1,0]
	v_pk_add_f32 v[28:29], v[28:29], v[32:33] op_sel:[0,1] op_sel_hi:[1,0] neg_lo:[0,1] neg_hi:[0,1]
	v_pk_add_f32 v[32:33], v[34:35], v[114:115] neg_lo:[0,1] neg_hi:[0,1]
	v_mul_u32_u24_e32 v0, 15, v46
	v_pk_mul_f32 v[100:101], v[32:33], s[8:9] op_sel_hi:[1,0]
	v_add_lshl_u32 v0, v0, v47, 3
	v_pk_add_f32 v[28:29], v[28:29], v[100:101] op_sel:[0,1] op_sel_hi:[1,0] neg_lo:[0,1] neg_hi:[0,1]
	v_pk_add_f32 v[42:43], v[42:43], v[100:101] op_sel:[0,1] op_sel_hi:[1,0]
	v_pk_add_f32 v[100:101], v[102:103], v[26:27]
	v_mov_b32_e32 v112, v42
	v_pk_add_f32 v[100:101], v[100:101], v[34:35]
	v_mov_b32_e32 v113, v29
	v_pk_add_f32 v[100:101], v[100:101], v[114:115]
	v_pk_fma_f32 v[112:113], v[8:9], s[2:3], v[112:113] op_sel_hi:[1,0,1]
	v_pk_add_f32 v[100:101], v[100:101], v[120:121]
	ds_write2_b64 v0, v[100:101], v[112:113] offset1:3
	v_pk_add_f32 v[100:101], v[26:27], v[120:121]
	v_pk_add_f32 v[26:27], v[34:35], v[26:27] neg_lo:[0,1] neg_hi:[0,1]
	v_pk_fma_f32 v[100:101], v[100:101], 0.5, v[102:103] op_sel_hi:[1,0,1] neg_lo:[1,0,0] neg_hi:[1,0,0]
	v_pk_add_f32 v[34:35], v[114:115], v[120:121] neg_lo:[0,1] neg_hi:[0,1]
	v_pk_mul_f32 v[32:33], v[32:33], s[6:7] op_sel_hi:[1,0]
	v_pk_add_f32 v[26:27], v[26:27], v[34:35]
	v_pk_add_f32 v[34:35], v[100:101], v[32:33] op_sel:[0,1] op_sel_hi:[1,0] neg_lo:[0,1] neg_hi:[0,1]
	v_pk_add_f32 v[32:33], v[100:101], v[32:33] op_sel:[0,1] op_sel_hi:[1,0]
	v_pk_mul_f32 v[30:31], v[30:31], s[8:9] op_sel_hi:[1,0]
	v_mov_b32_e32 v29, v43
	v_pk_add_f32 v[32:33], v[32:33], v[30:31] op_sel:[0,1] op_sel_hi:[1,0] neg_lo:[0,1] neg_hi:[0,1]
	v_pk_add_f32 v[30:31], v[34:35], v[30:31] op_sel:[0,1] op_sel_hi:[1,0]
	v_pk_fma_f32 v[8:9], v[8:9], s[2:3], v[28:29] op_sel_hi:[1,0,1]
	v_mov_b32_e32 v34, v30
	v_mov_b32_e32 v35, v33
	;; [unrolled: 1-line block ×3, first 2 shown]
	ds_write_b64 v0, v[8:9] offset:96
	v_pk_add_f32 v[8:9], v[4:5], v[6:7]
	v_pk_fma_f32 v[30:31], v[26:27], s[2:3], v[34:35] op_sel_hi:[1,0,1]
	v_pk_fma_f32 v[26:27], v[26:27], s[2:3], v[32:33] op_sel_hi:[1,0,1]
	v_pk_fma_f32 v[8:9], v[8:9], 0.5, v[104:105] op_sel_hi:[1,0,1] neg_lo:[1,0,0] neg_hi:[1,0,0]
	ds_write2_b64 v0, v[30:31], v[26:27] offset0:6 offset1:9
	v_accvgpr_write_b32 a85, v0
	v_mad_legacy_u16 v0, v24, 15, v25
	v_pk_fma_f32 v[14:15], v[12:13], s[6:7], v[8:9] op_sel:[1,0,0] op_sel_hi:[0,0,1] neg_lo:[1,0,0] neg_hi:[1,0,0]
	v_pk_fma_f32 v[8:9], v[12:13], s[6:7], v[8:9] op_sel:[1,0,0] op_sel_hi:[0,0,1]
	v_pk_add_f32 v[24:25], v[104:105], v[94:95]
	v_pk_fma_f32 v[8:9], v[16:17], s[8:9], v[8:9] op_sel:[1,0,0] op_sel_hi:[0,0,1]
	v_pk_fma_f32 v[14:15], v[16:17], s[8:9], v[14:15] op_sel:[1,0,0] op_sel_hi:[0,0,1] neg_lo:[1,0,0] neg_hi:[1,0,0]
	v_pk_add_f32 v[24:25], v[24:25], v[4:5]
	v_mov_b32_e32 v27, v9
	v_pk_add_f32 v[24:25], v[24:25], v[6:7]
	v_mov_b32_e32 v9, v15
	v_lshlrev_b32_e32 v0, 3, v0
	v_pk_add_f32 v[24:25], v[24:25], v[98:99]
	v_pk_fma_f32 v[8:9], v[10:11], s[2:3], v[8:9] op_sel_hi:[1,0,1]
	ds_write2_b64 v0, v[24:25], v[8:9] offset1:3
	v_pk_add_f32 v[4:5], v[4:5], v[94:95] neg_lo:[0,1] neg_hi:[0,1]
	v_pk_add_f32 v[8:9], v[94:95], v[98:99]
	v_pk_add_f32 v[6:7], v[6:7], v[98:99] neg_lo:[0,1] neg_hi:[0,1]
	v_mov_b32_e32 v26, v14
	v_pk_add_f32 v[4:5], v[4:5], v[6:7]
	v_pk_fma_f32 v[6:7], v[8:9], 0.5, v[104:105] op_sel_hi:[1,0,1] neg_lo:[1,0,0] neg_hi:[1,0,0]
	v_pk_add_f32 v[14:15], v[106:107], v[80:81]
	v_pk_fma_f32 v[8:9], v[16:17], s[6:7], v[6:7] op_sel:[1,0,0] op_sel_hi:[0,0,1]
	v_pk_fma_f32 v[6:7], v[16:17], s[6:7], v[6:7] op_sel:[1,0,0] op_sel_hi:[0,0,1] neg_lo:[1,0,0] neg_hi:[1,0,0]
	v_pk_fma_f32 v[6:7], v[12:13], s[8:9], v[6:7] op_sel:[1,0,0] op_sel_hi:[0,0,1]
	v_pk_fma_f32 v[8:9], v[12:13], s[8:9], v[8:9] op_sel:[1,0,0] op_sel_hi:[0,0,1] neg_lo:[1,0,0] neg_hi:[1,0,0]
	v_mov_b32_e32 v12, v8
	v_mov_b32_e32 v13, v7
	;; [unrolled: 1-line block ×3, first 2 shown]
	v_pk_fma_f32 v[8:9], v[4:5], s[2:3], v[12:13] op_sel_hi:[1,0,1]
	v_pk_fma_f32 v[4:5], v[4:5], s[2:3], v[6:7] op_sel_hi:[1,0,1]
	ds_write2_b64 v0, v[4:5], v[8:9] offset0:6 offset1:9
	v_pk_add_f32 v[4:5], v[80:81], v[82:83] neg_lo:[0,1] neg_hi:[0,1]
	v_pk_add_f32 v[6:7], v[86:87], v[84:85] neg_lo:[0,1] neg_hi:[0,1]
	;; [unrolled: 1-line block ×3, first 2 shown]
	v_pk_add_f32 v[4:5], v[4:5], v[6:7]
	v_pk_fma_f32 v[6:7], v[10:11], s[2:3], v[26:27] op_sel_hi:[1,0,1]
	ds_write_b64 v0, v[6:7] offset:96
	v_pk_add_f32 v[6:7], v[82:83], v[84:85]
	v_pk_add_f32 v[12:13], v[82:83], v[84:85] neg_lo:[0,1] neg_hi:[0,1]
	v_pk_fma_f32 v[6:7], v[6:7], 0.5, v[106:107] op_sel_hi:[1,0,1] neg_lo:[1,0,0] neg_hi:[1,0,0]
	v_pk_add_f32 v[14:15], v[14:15], v[82:83]
	v_pk_fma_f32 v[10:11], v[8:9], s[6:7], v[6:7] op_sel:[1,0,0] op_sel_hi:[0,0,1] neg_lo:[1,0,0] neg_hi:[1,0,0]
	v_pk_fma_f32 v[6:7], v[8:9], s[6:7], v[6:7] op_sel:[1,0,0] op_sel_hi:[0,0,1]
	v_pk_fma_f32 v[6:7], v[12:13], s[8:9], v[6:7] op_sel:[1,0,0] op_sel_hi:[0,0,1]
	v_pk_fma_f32 v[10:11], v[12:13], s[8:9], v[10:11] op_sel:[1,0,0] op_sel_hi:[0,0,1] neg_lo:[1,0,0] neg_hi:[1,0,0]
	v_accvgpr_write_b32 a91, v0
	v_mad_legacy_u16 v0, v22, 15, v23
	v_pk_add_f32 v[14:15], v[14:15], v[84:85]
	v_mov_b32_e32 v17, v7
	v_mov_b32_e32 v7, v11
	v_lshlrev_b32_e32 v0, 3, v0
	v_pk_add_f32 v[14:15], v[14:15], v[86:87]
	v_pk_fma_f32 v[6:7], v[4:5], s[2:3], v[6:7] op_sel_hi:[1,0,1]
	ds_write2_b64 v0, v[14:15], v[6:7] offset1:3
	v_pk_add_f32 v[6:7], v[80:81], v[86:87]
	v_pk_add_f32 v[14:15], v[82:83], v[80:81] neg_lo:[0,1] neg_hi:[0,1]
	v_pk_fma_f32 v[6:7], v[6:7], 0.5, v[106:107] op_sel_hi:[1,0,1] neg_lo:[1,0,0] neg_hi:[1,0,0]
	v_pk_add_f32 v[22:23], v[84:85], v[86:87] neg_lo:[0,1] neg_hi:[0,1]
	v_mov_b32_e32 v16, v10
	v_pk_add_f32 v[14:15], v[14:15], v[22:23]
	v_pk_fma_f32 v[22:23], v[12:13], s[6:7], v[6:7] op_sel:[1,0,0] op_sel_hi:[0,0,1]
	v_pk_fma_f32 v[6:7], v[12:13], s[6:7], v[6:7] op_sel:[1,0,0] op_sel_hi:[0,0,1] neg_lo:[1,0,0] neg_hi:[1,0,0]
	v_pk_fma_f32 v[6:7], v[8:9], s[8:9], v[6:7] op_sel:[1,0,0] op_sel_hi:[0,0,1]
	v_pk_fma_f32 v[8:9], v[8:9], s[8:9], v[22:23] op_sel:[1,0,0] op_sel_hi:[0,0,1] neg_lo:[1,0,0] neg_hi:[1,0,0]
	v_mov_b32_e32 v12, v8
	v_mov_b32_e32 v13, v7
	;; [unrolled: 1-line block ×3, first 2 shown]
	v_pk_fma_f32 v[8:9], v[14:15], s[2:3], v[12:13] op_sel_hi:[1,0,1]
	v_pk_fma_f32 v[6:7], v[14:15], s[2:3], v[6:7] op_sel_hi:[1,0,1]
	v_mov_b32_e32 v3, v0
	v_pk_fma_f32 v[4:5], v[4:5], s[2:3], v[16:17] op_sel_hi:[1,0,1]
	ds_write2_b64 v0, v[6:7], v[8:9] offset0:6 offset1:9
	v_pk_add_f32 v[0:1], v[66:67], v[68:69] neg_lo:[0,1] neg_hi:[0,1]
	v_pk_add_f32 v[6:7], v[72:73], v[70:71] neg_lo:[0,1] neg_hi:[0,1]
	ds_write_b64 v3, v[4:5] offset:96
	v_pk_add_f32 v[4:5], v[68:69], v[70:71]
	v_pk_add_f32 v[0:1], v[0:1], v[6:7]
	v_pk_fma_f32 v[4:5], v[4:5], 0.5, v[48:49] op_sel_hi:[1,0,1] neg_lo:[1,0,0] neg_hi:[1,0,0]
	v_pk_add_f32 v[6:7], v[66:67], v[72:73] neg_lo:[0,1] neg_hi:[0,1]
	v_pk_add_f32 v[10:11], v[68:69], v[70:71] neg_lo:[0,1] neg_hi:[0,1]
	v_pk_fma_f32 v[8:9], v[6:7], s[6:7], v[4:5] op_sel:[1,0,0] op_sel_hi:[0,0,1] neg_lo:[1,0,0] neg_hi:[1,0,0]
	v_pk_fma_f32 v[4:5], v[6:7], s[6:7], v[4:5] op_sel:[1,0,0] op_sel_hi:[0,0,1]
	v_pk_add_f32 v[12:13], v[48:49], v[66:67]
	v_pk_fma_f32 v[4:5], v[10:11], s[8:9], v[4:5] op_sel:[1,0,0] op_sel_hi:[0,0,1]
	v_pk_fma_f32 v[8:9], v[10:11], s[8:9], v[8:9] op_sel:[1,0,0] op_sel_hi:[0,0,1] neg_lo:[1,0,0] neg_hi:[1,0,0]
	v_pk_add_f32 v[12:13], v[12:13], v[68:69]
	v_accvgpr_write_b32 a95, v3
	v_mad_legacy_u16 v3, v20, 15, v21
	v_pk_add_f32 v[12:13], v[12:13], v[70:71]
	v_mov_b32_e32 v15, v5
	v_mov_b32_e32 v5, v9
	v_lshlrev_b32_e32 v3, 3, v3
	v_pk_add_f32 v[12:13], v[12:13], v[72:73]
	v_pk_fma_f32 v[4:5], v[0:1], s[2:3], v[4:5] op_sel_hi:[1,0,1]
	ds_write2_b64 v3, v[12:13], v[4:5] offset1:3
	v_pk_add_f32 v[12:13], v[66:67], v[72:73]
	v_pk_add_f32 v[4:5], v[68:69], v[66:67] neg_lo:[0,1] neg_hi:[0,1]
	v_pk_add_f32 v[16:17], v[70:71], v[72:73] neg_lo:[0,1] neg_hi:[0,1]
	v_pk_fma_f32 v[12:13], v[12:13], 0.5, v[48:49] op_sel_hi:[1,0,1] neg_lo:[1,0,0] neg_hi:[1,0,0]
	v_pk_add_f32 v[4:5], v[4:5], v[16:17]
	v_pk_fma_f32 v[16:17], v[10:11], s[6:7], v[12:13] op_sel:[1,0,0] op_sel_hi:[0,0,1]
	v_pk_fma_f32 v[10:11], v[10:11], s[6:7], v[12:13] op_sel:[1,0,0] op_sel_hi:[0,0,1] neg_lo:[1,0,0] neg_hi:[1,0,0]
	v_pk_fma_f32 v[10:11], v[6:7], s[8:9], v[10:11] op_sel:[1,0,0] op_sel_hi:[0,0,1]
	v_pk_fma_f32 v[6:7], v[6:7], s[8:9], v[16:17] op_sel:[1,0,0] op_sel_hi:[0,0,1] neg_lo:[1,0,0] neg_hi:[1,0,0]
	v_mov_b32_e32 v12, v6
	v_mov_b32_e32 v13, v11
	;; [unrolled: 1-line block ×4, first 2 shown]
	v_pk_fma_f32 v[6:7], v[4:5], s[2:3], v[12:13] op_sel_hi:[1,0,1]
	v_pk_fma_f32 v[4:5], v[4:5], s[2:3], v[10:11] op_sel_hi:[1,0,1]
	v_mov_b32_e32 v9, v3
	v_pk_fma_f32 v[0:1], v[0:1], s[2:3], v[14:15] op_sel_hi:[1,0,1]
	ds_write2_b64 v3, v[4:5], v[6:7] offset0:6 offset1:9
	v_mov_b32_e32 v3, v59
	ds_write_b64 v9, v[0:1] offset:96
	v_mad_legacy_u16 v0, v18, 15, v19
	v_pk_add_f32 v[4:5], v[2:3], v[52:53] neg_lo:[0,1] neg_hi:[0,1]
	v_pk_add_f32 v[6:7], v[56:57], v[54:55] neg_lo:[0,1] neg_hi:[0,1]
	v_lshlrev_b32_e32 v14, 3, v0
	v_pk_add_f32 v[0:1], v[52:53], v[54:55]
	v_pk_add_f32 v[4:5], v[4:5], v[6:7]
	v_pk_fma_f32 v[0:1], v[0:1], 0.5, v[50:51] op_sel_hi:[1,0,1] neg_lo:[1,0,0] neg_hi:[1,0,0]
	v_pk_add_f32 v[6:7], v[2:3], v[56:57] neg_lo:[0,1] neg_hi:[0,1]
	v_accvgpr_write_b32 a97, v9
	v_pk_fma_f32 v[8:9], v[6:7], s[6:7], v[0:1] op_sel:[1,0,0] op_sel_hi:[0,0,1] neg_lo:[1,0,0] neg_hi:[1,0,0]
	v_pk_fma_f32 v[0:1], v[6:7], s[6:7], v[0:1] op_sel:[1,0,0] op_sel_hi:[0,0,1]
	v_pk_add_f32 v[10:11], v[52:53], v[54:55] neg_lo:[0,1] neg_hi:[0,1]
	v_pk_add_f32 v[12:13], v[50:51], v[2:3]
	v_pk_fma_f32 v[0:1], v[10:11], s[8:9], v[0:1] op_sel:[1,0,0] op_sel_hi:[0,0,1]
	v_pk_fma_f32 v[8:9], v[10:11], s[8:9], v[8:9] op_sel:[1,0,0] op_sel_hi:[0,0,1] neg_lo:[1,0,0] neg_hi:[1,0,0]
	v_pk_add_f32 v[12:13], v[12:13], v[52:53]
	v_mov_b32_e32 v15, v1
	v_pk_add_f32 v[12:13], v[12:13], v[54:55]
	v_mov_b32_e32 v1, v9
	v_pk_add_f32 v[12:13], v[12:13], v[56:57]
	v_pk_fma_f32 v[0:1], v[4:5], s[2:3], v[0:1] op_sel_hi:[1,0,1]
	ds_write2_b64 v14, v[12:13], v[0:1] offset1:3
	v_pk_add_f32 v[0:1], v[2:3], v[56:57]
	v_pk_add_f32 v[2:3], v[52:53], v[2:3] neg_lo:[0,1] neg_hi:[0,1]
	v_pk_fma_f32 v[0:1], v[0:1], 0.5, v[50:51] op_sel_hi:[1,0,1] neg_lo:[1,0,0] neg_hi:[1,0,0]
	v_pk_add_f32 v[12:13], v[54:55], v[56:57] neg_lo:[0,1] neg_hi:[0,1]
	s_nop 0
	v_pk_add_f32 v[2:3], v[2:3], v[12:13]
	v_pk_fma_f32 v[12:13], v[10:11], s[6:7], v[0:1] op_sel:[1,0,0] op_sel_hi:[0,0,1]
	v_pk_fma_f32 v[0:1], v[10:11], s[6:7], v[0:1] op_sel:[1,0,0] op_sel_hi:[0,0,1] neg_lo:[1,0,0] neg_hi:[1,0,0]
	v_pk_fma_f32 v[0:1], v[6:7], s[8:9], v[0:1] op_sel:[1,0,0] op_sel_hi:[0,0,1]
	v_pk_fma_f32 v[6:7], v[6:7], s[8:9], v[12:13] op_sel:[1,0,0] op_sel_hi:[0,0,1] neg_lo:[1,0,0] neg_hi:[1,0,0]
	v_mov_b32_e32 v10, v6
	v_mov_b32_e32 v11, v1
	;; [unrolled: 1-line block ×3, first 2 shown]
	v_pk_fma_f32 v[6:7], v[2:3], s[2:3], v[10:11] op_sel_hi:[1,0,1]
	v_pk_fma_f32 v[0:1], v[2:3], s[2:3], v[0:1] op_sel_hi:[1,0,1]
	v_mov_b32_e32 v2, v14
	ds_write2_b64 v14, v[0:1], v[6:7] offset0:6 offset1:9
	v_mov_b32_e32 v14, v8
	v_pk_fma_f32 v[0:1], v[4:5], s[2:3], v[14:15] op_sel_hi:[1,0,1]
	s_mov_b32 s3, 0x8889
	ds_write_b64 v2, v[0:1] offset:96
	v_mul_u32_u24_sdwa v0, v126, s3 dst_sel:DWORD dst_unused:UNUSED_PAD src0_sel:WORD_0 src1_sel:DWORD
	v_lshrrev_b32_e32 v18, 19, v0
	v_mul_lo_u16_e32 v0, 15, v18
	v_sub_u16_e32 v19, v126, v0
	v_mul_u32_u24_sdwa v0, v124, s3 dst_sel:DWORD dst_unused:UNUSED_PAD src0_sel:WORD_0 src1_sel:DWORD
	v_lshrrev_b32_e32 v16, 19, v0
	v_mul_lo_u16_e32 v0, 15, v16
	v_sub_u16_e32 v17, v124, v0
	v_lshlrev_b16_e32 v0, 5, v17
	v_mov_b32_e32 v1, v97
	v_lshl_add_u64 v[0:1], s[10:11], 0, v[0:1]
	s_waitcnt lgkmcnt(0)
	s_barrier
	global_load_dwordx4 v[20:23], v[0:1], off offset:96
	v_accvgpr_write_b32 a89, v2
	v_lshlrev_b16_e32 v2, 5, v19
	v_mov_b32_e32 v3, v97
	v_lshl_add_u64 v[2:3], s[10:11], 0, v[2:3]
	global_load_dwordx4 v[24:27], v[2:3], off offset:96
	global_load_dwordx4 v[64:67], v[0:1], off offset:112
	;; [unrolled: 1-line block ×3, first 2 shown]
	ds_read2_b64 v[4:7], v93 offset0:98 offset1:223
	ds_read2_b64 v[10:13], v200 offset0:80 offset1:205
	v_lshlrev_b32_e32 v124, 5, v124
	v_lshl_add_u64 v[124:125], s[10:11], 0, v[124:125]
	s_waitcnt vmcnt(3) lgkmcnt(1)
	v_pk_mul_f32 v[0:1], v[6:7], v[20:21] op_sel:[0,1]
	s_nop 0
	v_pk_fma_f32 v[2:3], v[6:7], v[20:21], v[0:1] op_sel:[0,0,1] op_sel_hi:[1,1,0] neg_lo:[0,0,1] neg_hi:[0,0,1]
	v_pk_fma_f32 v[100:101], v[6:7], v[20:21], v[0:1] op_sel:[0,0,1] op_sel_hi:[1,0,0]
	s_waitcnt vmcnt(2)
	v_pk_mul_f32 v[0:1], v[4:5], v[24:25] op_sel:[0,1]
	v_mov_b32_e32 v8, v27
	v_pk_fma_f32 v[116:117], v[4:5], v[24:25], v[0:1] op_sel:[0,0,1] op_sel_hi:[1,1,0] neg_lo:[0,0,1] neg_hi:[0,0,1]
	v_pk_fma_f32 v[122:123], v[4:5], v[24:25], v[0:1] op_sel:[0,0,1] op_sel_hi:[1,0,0]
	v_mov_b32_e32 v4, v23
	s_waitcnt lgkmcnt(0)
	v_pk_mul_f32 v[0:1], v[12:13], v[4:5] op_sel_hi:[1,0]
	ds_read2_b64 v[4:7], v203 offset0:62 offset1:187
	v_pk_fma_f32 v[68:69], v[12:13], v[22:23], v[0:1] op_sel:[0,0,1] op_sel_hi:[1,1,0] neg_lo:[0,0,1] neg_hi:[0,0,1]
	v_pk_fma_f32 v[102:103], v[12:13], v[22:23], v[0:1] op_sel:[0,0,1] op_sel_hi:[1,0,0]
	v_pk_mul_f32 v[0:1], v[10:11], v[8:9] op_sel_hi:[1,0]
	v_accvgpr_write_b32 a156, v22
	v_pk_fma_f32 v[118:119], v[10:11], v[26:27], v[0:1] op_sel:[0,0,1] op_sel_hi:[1,1,0] neg_lo:[0,0,1] neg_hi:[0,0,1]
	v_pk_fma_f32 v[130:131], v[10:11], v[26:27], v[0:1] op_sel:[0,0,1] op_sel_hi:[1,0,0]
	ds_read2_b64 v[10:13], v202 offset0:44 offset1:169
	s_waitcnt vmcnt(1) lgkmcnt(1)
	v_pk_mul_f32 v[0:1], v[6:7], v[64:65] op_sel:[0,1]
	v_accvgpr_write_b32 a166, v23
	v_pk_fma_f32 v[70:71], v[6:7], v[64:65], v[0:1] op_sel:[0,0,1] op_sel_hi:[1,1,0] neg_lo:[0,0,1] neg_hi:[0,0,1]
	v_pk_fma_f32 v[112:113], v[6:7], v[64:65], v[0:1] op_sel:[0,0,1] op_sel_hi:[1,0,0]
	s_waitcnt vmcnt(0)
	v_pk_mul_f32 v[0:1], v[4:5], v[44:45] op_sel:[0,1]
	v_accvgpr_write_b32 a155, v21
	v_pk_fma_f32 v[132:133], v[4:5], v[44:45], v[0:1] op_sel:[0,0,1] op_sel_hi:[1,1,0] neg_lo:[0,0,1] neg_hi:[0,0,1]
	v_pk_fma_f32 v[136:137], v[4:5], v[44:45], v[0:1] op_sel:[0,0,1] op_sel_hi:[1,0,0]
	v_mov_b32_e32 v4, v67
	s_waitcnt lgkmcnt(0)
	v_pk_mul_f32 v[0:1], v[12:13], v[4:5] op_sel_hi:[1,0]
	v_mov_b32_e32 v4, v47
	v_pk_fma_f32 v[114:115], v[12:13], v[66:67], v[0:1] op_sel:[0,0,1] op_sel_hi:[1,1,0] neg_lo:[0,0,1] neg_hi:[0,0,1]
	v_pk_fma_f32 v[120:121], v[12:13], v[66:67], v[0:1] op_sel:[0,0,1] op_sel_hi:[1,0,0]
	v_pk_mul_f32 v[0:1], v[10:11], v[4:5] op_sel_hi:[1,0]
	v_accvgpr_write_b32 a154, v20
	v_pk_fma_f32 v[134:135], v[10:11], v[46:47], v[0:1] op_sel:[0,0,1] op_sel_hi:[1,1,0] neg_lo:[0,0,1] neg_hi:[0,0,1]
	v_pk_fma_f32 v[138:139], v[10:11], v[46:47], v[0:1] op_sel:[0,0,1] op_sel_hi:[1,0,0]
	v_mul_u32_u24_sdwa v0, v108, s3 dst_sel:DWORD dst_unused:UNUSED_PAD src0_sel:WORD_0 src1_sel:DWORD
	v_lshrrev_b32_e32 v3, 19, v0
	v_mul_lo_u16_e32 v0, 15, v3
	v_sub_u16_e32 v32, v108, v0
	v_lshlrev_b16_e32 v0, 5, v32
	v_mov_b32_e32 v1, v97
	v_lshl_add_u64 v[8:9], s[10:11], 0, v[0:1]
	v_mul_u32_u24_sdwa v0, v128, s3 dst_sel:DWORD dst_unused:UNUSED_PAD src0_sel:WORD_0 src1_sel:DWORD
	v_lshrrev_b32_e32 v33, 19, v0
	v_mul_lo_u16_e32 v0, 15, v33
	v_sub_u16_e32 v36, v128, v0
	v_lshlrev_b16_e32 v0, 5, v36
	v_lshl_add_u64 v[0:1], s[10:11], 0, v[0:1]
	global_load_dwordx4 v[72:75], v[0:1], off offset:96
	global_load_dwordx4 v[80:83], v[0:1], off offset:112
	ds_read2_b64 v[4:7], v188 offset0:104 offset1:229
	global_load_dwordx4 v[84:87], v[8:9], off offset:96
	global_load_dwordx4 v[76:79], v[8:9], off offset:112
	ds_read2_b64 v[12:15], v92 offset0:68 offset1:193
	ds_read2_b64 v[20:23], v109 offset0:50 offset1:175
	s_movk_i32 s3, 0x89
	v_accvgpr_write_b32 a160, v26
	v_accvgpr_write_b32 a159, v25
	;; [unrolled: 1-line block ×5, first 2 shown]
	v_mov_b32_e32 v117, v123
	v_mov_b32_e32 v119, v131
	;; [unrolled: 1-line block ×7, first 2 shown]
	v_accvgpr_write_b32 a164, v47
	v_mov_b32_e32 v47, v90
	s_waitcnt vmcnt(3) lgkmcnt(2)
	v_pk_mul_f32 v[10:11], v[6:7], v[72:73] op_sel:[0,1]
	s_nop 0
	v_pk_fma_f32 v[0:1], v[6:7], v[72:73], v[10:11] op_sel:[0,0,1] op_sel_hi:[1,1,0] neg_lo:[0,0,1] neg_hi:[0,0,1]
	v_pk_fma_f32 v[144:145], v[6:7], v[72:73], v[10:11] op_sel:[0,0,1] op_sel_hi:[1,0,0]
	s_waitcnt vmcnt(1)
	v_pk_mul_f32 v[6:7], v[4:5], v[84:85] op_sel:[0,1]
	v_mov_b32_e32 v10, v75
	v_pk_fma_f32 v[152:153], v[4:5], v[84:85], v[6:7] op_sel:[0,0,1] op_sel_hi:[1,1,0] neg_lo:[0,0,1] neg_hi:[0,0,1]
	v_pk_fma_f32 v[158:159], v[4:5], v[84:85], v[6:7] op_sel:[0,0,1] op_sel_hi:[1,0,0]
	ds_read2_b64 v[4:7], v189 offset0:86 offset1:211
	v_mul_lo_u16_sdwa v1, v224, s3 dst_sel:DWORD dst_unused:UNUSED_PAD src0_sel:BYTE_0 src1_sel:DWORD
	v_lshrrev_b16_e32 v1, 11, v1
	v_mov_b32_e32 v153, v159
	v_accvgpr_write_b32 a176, v75
	s_waitcnt lgkmcnt(0)
	v_pk_mul_f32 v[8:9], v[6:7], v[10:11] op_sel_hi:[1,0]
	s_waitcnt vmcnt(0)
	v_accvgpr_write_b32 a172, v79
	v_pk_fma_f32 v[140:141], v[6:7], v[74:75], v[8:9] op_sel:[0,0,1] op_sel_hi:[1,1,0] neg_lo:[0,0,1] neg_hi:[0,0,1]
	v_pk_fma_f32 v[148:149], v[6:7], v[74:75], v[8:9] op_sel:[0,0,1] op_sel_hi:[1,0,0]
	v_mov_b32_e32 v8, v87
	v_pk_mul_f32 v[6:7], v[4:5], v[8:9] op_sel_hi:[1,0]
	v_mov_b32_e32 v8, v83
	v_pk_fma_f32 v[156:157], v[4:5], v[86:87], v[6:7] op_sel:[0,0,1] op_sel_hi:[1,1,0] neg_lo:[0,0,1] neg_hi:[0,0,1]
	v_pk_fma_f32 v[10:11], v[4:5], v[86:87], v[6:7] op_sel:[0,0,1] op_sel_hi:[1,0,0]
	v_pk_mul_f32 v[4:5], v[14:15], v[80:81] op_sel:[0,1]
	v_pk_mul_f32 v[6:7], v[12:13], v[76:77] op_sel:[0,1]
	v_pk_fma_f32 v[142:143], v[14:15], v[80:81], v[4:5] op_sel:[0,0,1] op_sel_hi:[1,1,0] neg_lo:[0,0,1] neg_hi:[0,0,1]
	v_pk_fma_f32 v[150:151], v[14:15], v[80:81], v[4:5] op_sel:[0,0,1] op_sel_hi:[1,0,0]
	v_pk_fma_f32 v[4:5], v[12:13], v[76:77], v[6:7] op_sel:[0,0,1] op_sel_hi:[1,1,0] neg_lo:[0,0,1] neg_hi:[0,0,1]
	v_pk_fma_f32 v[12:13], v[12:13], v[76:77], v[6:7] op_sel:[0,0,1] op_sel_hi:[1,0,0]
	v_pk_mul_f32 v[6:7], v[22:23], v[8:9] op_sel_hi:[1,0]
	v_mul_lo_u16_e32 v5, 15, v1
	v_pk_fma_f32 v[146:147], v[22:23], v[82:83], v[6:7] op_sel:[0,0,1] op_sel_hi:[1,1,0] neg_lo:[0,0,1] neg_hi:[0,0,1]
	v_pk_fma_f32 v[154:155], v[22:23], v[82:83], v[6:7] op_sel:[0,0,1] op_sel_hi:[1,0,0]
	v_mov_b32_e32 v6, v79
	v_pk_mul_f32 v[8:9], v[20:21], v[6:7] op_sel_hi:[1,0]
	v_sub_u16_e32 v5, v224, v5
	v_pk_fma_f32 v[6:7], v[20:21], v[78:79], v[8:9] op_sel:[0,0,1] op_sel_hi:[1,1,0] neg_lo:[0,0,1] neg_hi:[0,0,1]
	v_pk_fma_f32 v[14:15], v[20:21], v[78:79], v[8:9] op_sel:[0,0,1] op_sel_hi:[1,0,0]
	v_mul_lo_u16_sdwa v7, v110, s3 dst_sel:DWORD dst_unused:UNUSED_PAD src0_sel:BYTE_0 src1_sel:DWORD
	v_lshrrev_b16_e32 v7, 11, v7
	v_mul_lo_u16_e32 v8, 15, v7
	v_sub_u16_e32 v8, v110, v8
	v_and_b32_e32 v10, 0xff, v8
	v_lshlrev_b32_e32 v8, 5, v10
	global_load_dwordx4 v[60:63], v8, s[10:11] offset:96
	global_load_dwordx4 v[56:59], v8, s[10:11] offset:112
	ds_read2_b64 v[20:23], v190 offset0:110 offset1:235
	v_and_b32_e32 v5, 0xff, v5
	v_mul_u32_u24_e32 v1, 0x4b, v1
	v_add_lshl_u32 v1, v1, v5, 3
	v_accvgpr_write_b32 a105, v1
	v_mov_b32_e32 v157, v11
	v_mov_b32_e32 v141, v149
	;; [unrolled: 1-line block ×4, first 2 shown]
	v_accvgpr_write_b32 a170, v87
	v_mov_b32_e32 v87, v111
	v_accvgpr_write_b32 a174, v83
	v_mov_b32_e32 v83, v200
	s_waitcnt vmcnt(1) lgkmcnt(0)
	v_pk_mul_f32 v[8:9], v[22:23], v[60:61] op_sel:[0,1]
	s_nop 0
	v_pk_fma_f32 v[24:25], v[22:23], v[60:61], v[8:9] op_sel:[0,0,1] op_sel_hi:[1,1,0] neg_lo:[0,0,1] neg_hi:[0,0,1]
	v_pk_fma_f32 v[8:9], v[22:23], v[60:61], v[8:9] op_sel:[0,0,1] op_sel_hi:[1,0,0]
	s_waitcnt vmcnt(0)
	v_accvgpr_write_b32 a182, v59
	v_lshlrev_b32_e32 v8, 5, v5
	global_load_dwordx4 v[104:107], v8, s[10:11] offset:96
	global_load_dwordx4 v[52:55], v8, s[10:11] offset:112
	v_mov_b32_e32 v8, v63
	v_mov_b32_e32 v25, v9
	v_accvgpr_write_b32 a184, v63
	v_mov_b32_e32 v5, v13
	s_waitcnt vmcnt(1)
	v_pk_mul_f32 v[22:23], v[20:21], v[104:105] op_sel:[0,1]
	s_nop 0
	v_pk_fma_f32 v[26:27], v[20:21], v[104:105], v[22:23] op_sel:[0,0,1] op_sel_hi:[1,1,0] neg_lo:[0,0,1] neg_hi:[0,0,1]
	v_pk_fma_f32 v[28:29], v[20:21], v[104:105], v[22:23] op_sel:[0,0,1] op_sel_hi:[1,0,0]
	ds_read2_b64 v[20:23], v90 offset0:92 offset1:217
	v_mov_b32_e32 v27, v29
	s_waitcnt vmcnt(0)
	v_accvgpr_write_b32 a180, v55
	v_accvgpr_write_b32 a178, v107
	s_waitcnt lgkmcnt(0)
	v_pk_mul_f32 v[30:31], v[22:23], v[8:9] op_sel_hi:[1,0]
	v_mov_b32_e32 v8, v107
	v_pk_fma_f32 v[34:35], v[22:23], v[62:63], v[30:31] op_sel:[0,0,1] op_sel_hi:[1,1,0] neg_lo:[0,0,1] neg_hi:[0,0,1]
	v_pk_fma_f32 v[30:31], v[22:23], v[62:63], v[30:31] op_sel:[0,0,1] op_sel_hi:[1,0,0]
	v_pk_mul_f32 v[22:23], v[20:21], v[8:9] op_sel_hi:[1,0]
	v_mov_b32_e32 v8, v59
	v_pk_fma_f32 v[42:43], v[20:21], v[106:107], v[22:23] op_sel:[0,0,1] op_sel_hi:[1,1,0] neg_lo:[0,0,1] neg_hi:[0,0,1]
	v_pk_fma_f32 v[48:49], v[20:21], v[106:107], v[22:23] op_sel:[0,0,1] op_sel_hi:[1,0,0]
	ds_read2_b64 v[20:23], v111 offset0:74 offset1:199
	v_mov_b32_e32 v43, v49
	v_mov_b32_e32 v35, v31
	s_waitcnt lgkmcnt(0)
	v_pk_mul_f32 v[50:51], v[22:23], v[56:57] op_sel:[0,1]
	s_nop 0
	v_pk_fma_f32 v[164:165], v[22:23], v[56:57], v[50:51] op_sel:[0,0,1] op_sel_hi:[1,1,0] neg_lo:[0,0,1] neg_hi:[0,0,1]
	v_pk_fma_f32 v[166:167], v[22:23], v[56:57], v[50:51] op_sel:[0,0,1] op_sel_hi:[1,0,0]
	v_pk_mul_f32 v[22:23], v[20:21], v[52:53] op_sel:[0,1]
	v_mov_b32_e32 v165, v167
	v_pk_fma_f32 v[168:169], v[20:21], v[52:53], v[22:23] op_sel:[0,0,1] op_sel_hi:[1,1,0] neg_lo:[0,0,1] neg_hi:[0,0,1]
	v_pk_fma_f32 v[50:51], v[20:21], v[52:53], v[22:23] op_sel:[0,0,1] op_sel_hi:[1,0,0]
	ds_read2_b64 v[20:23], v201 offset0:56 offset1:181
	v_mov_b32_e32 v169, v51
	v_pk_add_f32 v[48:49], v[42:43], v[168:169]
	v_pk_add_f32 v[178:179], v[42:43], v[168:169] neg_lo:[0,1] neg_hi:[0,1]
	s_waitcnt lgkmcnt(0)
	v_pk_mul_f32 v[160:161], v[22:23], v[8:9] op_sel_hi:[1,0]
	v_mov_b32_e32 v8, v55
	v_pk_fma_f32 v[170:171], v[22:23], v[58:59], v[160:161] op_sel:[0,0,1] op_sel_hi:[1,1,0] neg_lo:[0,0,1] neg_hi:[0,0,1]
	v_pk_fma_f32 v[172:173], v[22:23], v[58:59], v[160:161] op_sel:[0,0,1] op_sel_hi:[1,0,0]
	v_pk_mul_f32 v[22:23], v[20:21], v[8:9] op_sel_hi:[1,0]
	v_mov_b32_e32 v171, v173
	v_pk_fma_f32 v[174:175], v[20:21], v[54:55], v[22:23] op_sel:[0,0,1] op_sel_hi:[1,1,0] neg_lo:[0,0,1] neg_hi:[0,0,1]
	v_pk_fma_f32 v[20:21], v[20:21], v[54:55], v[22:23] op_sel:[0,0,1] op_sel_hi:[1,0,0]
	v_mov_b32_e32 v59, v162
	v_mov_b32_e32 v175, v21
	v_pk_add_f32 v[20:21], v[26:27], v[42:43] neg_lo:[0,1] neg_hi:[0,1]
	v_pk_add_f32 v[22:23], v[174:175], v[168:169] neg_lo:[0,1] neg_hi:[0,1]
	;; [unrolled: 1-line block ×3, first 2 shown]
	v_pk_add_f32 v[28:29], v[20:21], v[22:23]
	ds_read2_b64 v[20:23], v96 offset1:125
	v_pk_mul_f32 v[50:51], v[176:177], s[6:7] op_sel_hi:[1,0]
	v_mov_b32_e32 v55, v190
	s_waitcnt lgkmcnt(0)
	v_pk_fma_f32 v[48:49], v[48:49], 0.5, v[20:21] op_sel_hi:[1,0,1] neg_lo:[1,0,0] neg_hi:[1,0,0]
	s_nop 0
	v_pk_add_f32 v[160:161], v[48:49], v[50:51] op_sel:[0,1] op_sel_hi:[1,0]
	v_pk_add_f32 v[48:49], v[48:49], v[50:51] op_sel:[0,1] op_sel_hi:[1,0] neg_lo:[0,1] neg_hi:[0,1]
	v_pk_mul_f32 v[50:51], v[178:179], s[8:9] op_sel_hi:[1,0]
	s_nop 0
	v_pk_add_f32 v[180:181], v[48:49], v[50:51] op_sel:[0,1] op_sel_hi:[1,0] neg_lo:[0,1] neg_hi:[0,1]
	v_pk_add_f32 v[48:49], v[20:21], v[26:27]
	v_pk_add_f32 v[182:183], v[160:161], v[50:51] op_sel:[0,1] op_sel_hi:[1,0]
	v_pk_add_f32 v[48:49], v[48:49], v[42:43]
	v_pk_add_f32 v[42:43], v[42:43], v[26:27] neg_lo:[0,1] neg_hi:[0,1]
	v_pk_add_f32 v[26:27], v[26:27], v[174:175]
	v_pk_add_f32 v[48:49], v[48:49], v[168:169]
	v_pk_add_f32 v[168:169], v[168:169], v[174:175] neg_lo:[0,1] neg_hi:[0,1]
	v_pk_fma_f32 v[20:21], v[26:27], 0.5, v[20:21] op_sel_hi:[1,0,1] neg_lo:[1,0,0] neg_hi:[1,0,0]
	v_pk_mul_f32 v[26:27], v[178:179], s[6:7] op_sel_hi:[1,0]
	v_pk_add_f32 v[42:43], v[42:43], v[168:169]
	v_pk_add_f32 v[168:169], v[20:21], v[26:27] op_sel:[0,1] op_sel_hi:[1,0] neg_lo:[0,1] neg_hi:[0,1]
	v_pk_add_f32 v[20:21], v[20:21], v[26:27] op_sel:[0,1] op_sel_hi:[1,0]
	v_pk_mul_f32 v[26:27], v[176:177], s[8:9] op_sel_hi:[1,0]
	v_mov_b32_e32 v187, v181
	v_pk_add_f32 v[20:21], v[20:21], v[26:27] op_sel:[0,1] op_sel_hi:[1,0] neg_lo:[0,1] neg_hi:[0,1]
	v_pk_add_f32 v[26:27], v[168:169], v[26:27] op_sel:[0,1] op_sel_hi:[1,0]
	v_mov_b32_e32 v169, v21
	v_mov_b32_e32 v168, v26
	;; [unrolled: 1-line block ×4, first 2 shown]
	v_pk_fma_f32 v[26:27], v[42:43], s[2:3], v[168:169] op_sel_hi:[1,0,1]
	v_pk_fma_f32 v[20:21], v[42:43], s[2:3], v[20:21] op_sel_hi:[1,0,1]
	v_pk_fma_f32 v[8:9], v[28:29], s[2:3], v[180:181] op_sel_hi:[1,0,1]
	v_pk_add_f32 v[184:185], v[48:49], v[174:175]
	ds_read2_b64 v[48:51], v162 offset0:116 offset1:241
	ds_read2_b64 v[160:163], v91 offset0:122 offset1:247
	s_waitcnt lgkmcnt(0)
	s_barrier
	ds_write2_b64 v1, v[26:27], v[20:21] offset0:30 offset1:45
	ds_write_b64 v1, v[8:9] offset:480
	v_pk_add_f32 v[8:9], v[24:25], v[34:35] neg_lo:[0,1] neg_hi:[0,1]
	v_pk_add_f32 v[20:21], v[170:171], v[164:165] neg_lo:[0,1] neg_hi:[0,1]
	v_mov_b32_e32 v186, v182
	v_pk_add_f32 v[8:9], v[8:9], v[20:21]
	v_pk_add_f32 v[20:21], v[34:35], v[164:165]
	v_pk_add_f32 v[26:27], v[24:25], v[170:171] neg_lo:[0,1] neg_hi:[0,1]
	v_pk_fma_f32 v[186:187], v[28:29], s[2:3], v[186:187] op_sel_hi:[1,0,1]
	v_pk_fma_f32 v[20:21], v[20:21], 0.5, v[22:23] op_sel_hi:[1,0,1] neg_lo:[1,0,0] neg_hi:[1,0,0]
	v_pk_mul_f32 v[28:29], v[26:27], s[6:7] op_sel_hi:[1,0]
	ds_write2_b64 v1, v[184:185], v[186:187] offset1:15
	v_pk_add_f32 v[30:31], v[20:21], v[28:29] op_sel:[0,1] op_sel_hi:[1,0]
	v_pk_add_f32 v[20:21], v[20:21], v[28:29] op_sel:[0,1] op_sel_hi:[1,0] neg_lo:[0,1] neg_hi:[0,1]
	v_pk_add_f32 v[28:29], v[34:35], v[164:165] neg_lo:[0,1] neg_hi:[0,1]
	v_mul_u32_u24_e32 v1, 0x4b, v7
	v_pk_mul_f32 v[42:43], v[28:29], s[8:9] op_sel_hi:[1,0]
	v_add_lshl_u32 v63, v1, v10, 3
	v_pk_add_f32 v[20:21], v[20:21], v[42:43] op_sel:[0,1] op_sel_hi:[1,0] neg_lo:[0,1] neg_hi:[0,1]
	v_pk_add_f32 v[30:31], v[30:31], v[42:43] op_sel:[0,1] op_sel_hi:[1,0]
	v_pk_add_f32 v[42:43], v[22:23], v[24:25]
	v_mov_b32_e32 v166, v30
	v_pk_add_f32 v[42:43], v[42:43], v[34:35]
	v_mov_b32_e32 v167, v21
	v_pk_add_f32 v[42:43], v[42:43], v[164:165]
	v_pk_fma_f32 v[166:167], v[8:9], s[2:3], v[166:167] op_sel_hi:[1,0,1]
	v_pk_add_f32 v[42:43], v[42:43], v[170:171]
	ds_write2_b64 v63, v[42:43], v[166:167] offset1:15
	v_pk_add_f32 v[42:43], v[24:25], v[170:171]
	v_pk_add_f32 v[24:25], v[34:35], v[24:25] neg_lo:[0,1] neg_hi:[0,1]
	v_pk_fma_f32 v[22:23], v[42:43], 0.5, v[22:23] op_sel_hi:[1,0,1] neg_lo:[1,0,0] neg_hi:[1,0,0]
	v_pk_add_f32 v[34:35], v[164:165], v[170:171] neg_lo:[0,1] neg_hi:[0,1]
	v_pk_mul_f32 v[28:29], v[28:29], s[6:7] op_sel_hi:[1,0]
	v_pk_add_f32 v[24:25], v[24:25], v[34:35]
	v_pk_add_f32 v[34:35], v[22:23], v[28:29] op_sel:[0,1] op_sel_hi:[1,0] neg_lo:[0,1] neg_hi:[0,1]
	v_pk_add_f32 v[22:23], v[22:23], v[28:29] op_sel:[0,1] op_sel_hi:[1,0]
	v_pk_mul_f32 v[26:27], v[26:27], s[8:9] op_sel_hi:[1,0]
	v_mov_b32_e32 v21, v31
	v_pk_add_f32 v[22:23], v[22:23], v[26:27] op_sel:[0,1] op_sel_hi:[1,0] neg_lo:[0,1] neg_hi:[0,1]
	v_pk_add_f32 v[26:27], v[34:35], v[26:27] op_sel:[0,1] op_sel_hi:[1,0]
	v_mov_b32_e32 v7, v15
	v_pk_fma_f32 v[8:9], v[8:9], s[2:3], v[20:21] op_sel_hi:[1,0,1]
	v_mov_b32_e32 v28, v26
	v_mov_b32_e32 v29, v23
	;; [unrolled: 1-line block ×3, first 2 shown]
	v_pk_add_f32 v[10:11], v[152:153], v[156:157] neg_lo:[0,1] neg_hi:[0,1]
	v_pk_add_f32 v[12:13], v[6:7], v[4:5] neg_lo:[0,1] neg_hi:[0,1]
	ds_write_b64 v63, v[8:9] offset:480
	v_pk_add_f32 v[8:9], v[156:157], v[4:5]
	v_pk_fma_f32 v[26:27], v[24:25], s[2:3], v[28:29] op_sel_hi:[1,0,1]
	v_pk_fma_f32 v[22:23], v[24:25], s[2:3], v[22:23] op_sel_hi:[1,0,1]
	v_pk_add_f32 v[10:11], v[10:11], v[12:13]
	v_pk_fma_f32 v[8:9], v[8:9], 0.5, v[160:161] op_sel_hi:[1,0,1] neg_lo:[1,0,0] neg_hi:[1,0,0]
	v_pk_add_f32 v[12:13], v[152:153], v[6:7] neg_lo:[0,1] neg_hi:[0,1]
	ds_write2_b64 v63, v[26:27], v[22:23] offset0:30 offset1:45
	v_pk_fma_f32 v[14:15], v[12:13], s[6:7], v[8:9] op_sel:[1,0,0] op_sel_hi:[0,0,1] neg_lo:[1,0,0] neg_hi:[1,0,0]
	v_pk_fma_f32 v[8:9], v[12:13], s[6:7], v[8:9] op_sel:[1,0,0] op_sel_hi:[0,0,1]
	v_pk_add_f32 v[20:21], v[156:157], v[4:5] neg_lo:[0,1] neg_hi:[0,1]
	v_pk_add_f32 v[22:23], v[160:161], v[152:153]
	s_movk_i32 s3, 0x4b
	v_pk_fma_f32 v[8:9], v[20:21], s[8:9], v[8:9] op_sel:[1,0,0] op_sel_hi:[0,0,1]
	v_pk_fma_f32 v[14:15], v[20:21], s[8:9], v[14:15] op_sel:[1,0,0] op_sel_hi:[0,0,1] neg_lo:[1,0,0] neg_hi:[1,0,0]
	v_pk_add_f32 v[22:23], v[22:23], v[156:157]
	v_mad_legacy_u16 v1, v3, s3, v32
	v_pk_add_f32 v[22:23], v[22:23], v[4:5]
	v_mov_b32_e32 v25, v9
	v_mov_b32_e32 v9, v15
	v_lshlrev_b32_e32 v225, 3, v1
	v_pk_add_f32 v[22:23], v[22:23], v[6:7]
	v_pk_fma_f32 v[8:9], v[10:11], s[2:3], v[8:9] op_sel_hi:[1,0,1]
	ds_write2_b64 v225, v[22:23], v[8:9] offset1:15
	v_pk_add_f32 v[22:23], v[152:153], v[6:7]
	v_pk_add_f32 v[8:9], v[156:157], v[152:153] neg_lo:[0,1] neg_hi:[0,1]
	v_pk_add_f32 v[4:5], v[4:5], v[6:7] neg_lo:[0,1] neg_hi:[0,1]
	v_pk_fma_f32 v[6:7], v[22:23], 0.5, v[160:161] op_sel_hi:[1,0,1] neg_lo:[1,0,0] neg_hi:[1,0,0]
	v_pk_add_f32 v[4:5], v[8:9], v[4:5]
	v_pk_fma_f32 v[8:9], v[20:21], s[6:7], v[6:7] op_sel:[1,0,0] op_sel_hi:[0,0,1]
	v_pk_fma_f32 v[6:7], v[20:21], s[6:7], v[6:7] op_sel:[1,0,0] op_sel_hi:[0,0,1] neg_lo:[1,0,0] neg_hi:[1,0,0]
	v_pk_fma_f32 v[6:7], v[12:13], s[8:9], v[6:7] op_sel:[1,0,0] op_sel_hi:[0,0,1]
	v_pk_fma_f32 v[8:9], v[12:13], s[8:9], v[8:9] op_sel:[1,0,0] op_sel_hi:[0,0,1] neg_lo:[1,0,0] neg_hi:[1,0,0]
	v_mov_b32_e32 v12, v8
	v_mov_b32_e32 v13, v7
	;; [unrolled: 1-line block ×3, first 2 shown]
	v_pk_fma_f32 v[8:9], v[4:5], s[2:3], v[12:13] op_sel_hi:[1,0,1]
	v_pk_fma_f32 v[4:5], v[4:5], s[2:3], v[6:7] op_sel_hi:[1,0,1]
	v_mov_b32_e32 v1, v145
	ds_write2_b64 v225, v[4:5], v[8:9] offset0:30 offset1:45
	v_pk_add_f32 v[4:5], v[0:1], v[140:141] neg_lo:[0,1] neg_hi:[0,1]
	v_pk_add_f32 v[6:7], v[146:147], v[142:143] neg_lo:[0,1] neg_hi:[0,1]
	v_mov_b32_e32 v24, v14
	v_pk_add_f32 v[4:5], v[4:5], v[6:7]
	v_pk_fma_f32 v[6:7], v[10:11], s[2:3], v[24:25] op_sel_hi:[1,0,1]
	ds_write_b64 v225, v[6:7] offset:480
	v_pk_add_f32 v[6:7], v[140:141], v[142:143]
	v_pk_add_f32 v[8:9], v[0:1], v[146:147] neg_lo:[0,1] neg_hi:[0,1]
	v_pk_fma_f32 v[6:7], v[6:7], 0.5, v[162:163] op_sel_hi:[1,0,1] neg_lo:[1,0,0] neg_hi:[1,0,0]
	v_pk_add_f32 v[12:13], v[140:141], v[142:143] neg_lo:[0,1] neg_hi:[0,1]
	v_pk_fma_f32 v[10:11], v[8:9], s[6:7], v[6:7] op_sel:[1,0,0] op_sel_hi:[0,0,1] neg_lo:[1,0,0] neg_hi:[1,0,0]
	v_pk_fma_f32 v[6:7], v[8:9], s[6:7], v[6:7] op_sel:[1,0,0] op_sel_hi:[0,0,1]
	v_pk_add_f32 v[14:15], v[162:163], v[0:1]
	v_pk_fma_f32 v[6:7], v[12:13], s[8:9], v[6:7] op_sel:[1,0,0] op_sel_hi:[0,0,1]
	v_pk_fma_f32 v[10:11], v[12:13], s[8:9], v[10:11] op_sel:[1,0,0] op_sel_hi:[0,0,1] neg_lo:[1,0,0] neg_hi:[1,0,0]
	v_pk_add_f32 v[14:15], v[14:15], v[140:141]
	v_mad_legacy_u16 v3, v33, s3, v36
	v_pk_add_f32 v[14:15], v[14:15], v[142:143]
	v_mov_b32_e32 v21, v7
	v_mov_b32_e32 v7, v11
	v_lshlrev_b32_e32 v67, 3, v3
	v_pk_add_f32 v[14:15], v[14:15], v[146:147]
	v_pk_fma_f32 v[6:7], v[4:5], s[2:3], v[6:7] op_sel_hi:[1,0,1]
	ds_write2_b64 v67, v[14:15], v[6:7] offset1:15
	v_pk_add_f32 v[6:7], v[0:1], v[146:147]
	v_pk_add_f32 v[0:1], v[140:141], v[0:1] neg_lo:[0,1] neg_hi:[0,1]
	v_pk_fma_f32 v[6:7], v[6:7], 0.5, v[162:163] op_sel_hi:[1,0,1] neg_lo:[1,0,0] neg_hi:[1,0,0]
	v_pk_add_f32 v[14:15], v[142:143], v[146:147] neg_lo:[0,1] neg_hi:[0,1]
	v_mov_b32_e32 v20, v10
	v_pk_add_f32 v[0:1], v[0:1], v[14:15]
	v_pk_fma_f32 v[14:15], v[12:13], s[6:7], v[6:7] op_sel:[1,0,0] op_sel_hi:[0,0,1]
	v_pk_fma_f32 v[6:7], v[12:13], s[6:7], v[6:7] op_sel:[1,0,0] op_sel_hi:[0,0,1] neg_lo:[1,0,0] neg_hi:[1,0,0]
	v_pk_fma_f32 v[6:7], v[8:9], s[8:9], v[6:7] op_sel:[1,0,0] op_sel_hi:[0,0,1]
	v_pk_fma_f32 v[8:9], v[8:9], s[8:9], v[14:15] op_sel:[1,0,0] op_sel_hi:[0,0,1] neg_lo:[1,0,0] neg_hi:[1,0,0]
	v_mov_b32_e32 v12, v8
	v_mov_b32_e32 v13, v7
	;; [unrolled: 1-line block ×3, first 2 shown]
	v_pk_fma_f32 v[8:9], v[0:1], s[2:3], v[12:13] op_sel_hi:[1,0,1]
	v_pk_fma_f32 v[0:1], v[0:1], s[2:3], v[6:7] op_sel_hi:[1,0,1]
	;; [unrolled: 1-line block ×3, first 2 shown]
	ds_write2_b64 v67, v[0:1], v[8:9] offset0:30 offset1:45
	v_pk_add_f32 v[0:1], v[116:117], v[118:119] neg_lo:[0,1] neg_hi:[0,1]
	v_pk_add_f32 v[6:7], v[134:135], v[132:133] neg_lo:[0,1] neg_hi:[0,1]
	ds_write_b64 v67, v[4:5] offset:480
	v_pk_add_f32 v[4:5], v[118:119], v[132:133]
	v_pk_add_f32 v[0:1], v[0:1], v[6:7]
	v_pk_fma_f32 v[4:5], v[4:5], 0.5, v[48:49] op_sel_hi:[1,0,1] neg_lo:[1,0,0] neg_hi:[1,0,0]
	v_pk_add_f32 v[6:7], v[116:117], v[134:135] neg_lo:[0,1] neg_hi:[0,1]
	v_pk_add_f32 v[10:11], v[118:119], v[132:133] neg_lo:[0,1] neg_hi:[0,1]
	v_pk_fma_f32 v[8:9], v[6:7], s[6:7], v[4:5] op_sel:[1,0,0] op_sel_hi:[0,0,1] neg_lo:[1,0,0] neg_hi:[1,0,0]
	v_pk_fma_f32 v[4:5], v[6:7], s[6:7], v[4:5] op_sel:[1,0,0] op_sel_hi:[0,0,1]
	v_pk_add_f32 v[12:13], v[48:49], v[116:117]
	v_pk_fma_f32 v[4:5], v[10:11], s[8:9], v[4:5] op_sel:[1,0,0] op_sel_hi:[0,0,1]
	v_pk_fma_f32 v[8:9], v[10:11], s[8:9], v[8:9] op_sel:[1,0,0] op_sel_hi:[0,0,1] neg_lo:[1,0,0] neg_hi:[1,0,0]
	v_pk_add_f32 v[12:13], v[12:13], v[118:119]
	v_mad_legacy_u16 v3, v18, s3, v19
	v_pk_add_f32 v[12:13], v[12:13], v[132:133]
	v_mov_b32_e32 v15, v5
	v_mov_b32_e32 v5, v9
	v_lshlrev_b32_e32 v75, 3, v3
	v_pk_add_f32 v[12:13], v[12:13], v[134:135]
	v_pk_fma_f32 v[4:5], v[0:1], s[2:3], v[4:5] op_sel_hi:[1,0,1]
	ds_write2_b64 v75, v[12:13], v[4:5] offset1:15
	v_pk_add_f32 v[12:13], v[116:117], v[134:135]
	v_pk_add_f32 v[4:5], v[118:119], v[116:117] neg_lo:[0,1] neg_hi:[0,1]
	v_pk_add_f32 v[18:19], v[132:133], v[134:135] neg_lo:[0,1] neg_hi:[0,1]
	v_pk_fma_f32 v[12:13], v[12:13], 0.5, v[48:49] op_sel_hi:[1,0,1] neg_lo:[1,0,0] neg_hi:[1,0,0]
	v_pk_add_f32 v[4:5], v[4:5], v[18:19]
	v_pk_fma_f32 v[18:19], v[10:11], s[6:7], v[12:13] op_sel:[1,0,0] op_sel_hi:[0,0,1]
	v_pk_fma_f32 v[10:11], v[10:11], s[6:7], v[12:13] op_sel:[1,0,0] op_sel_hi:[0,0,1] neg_lo:[1,0,0] neg_hi:[1,0,0]
	v_pk_fma_f32 v[10:11], v[6:7], s[8:9], v[10:11] op_sel:[1,0,0] op_sel_hi:[0,0,1]
	v_pk_fma_f32 v[6:7], v[6:7], s[8:9], v[18:19] op_sel:[1,0,0] op_sel_hi:[0,0,1] neg_lo:[1,0,0] neg_hi:[1,0,0]
	v_mov_b32_e32 v14, v8
	v_mov_b32_e32 v12, v6
	;; [unrolled: 1-line block ×4, first 2 shown]
	v_pk_fma_f32 v[0:1], v[0:1], s[2:3], v[14:15] op_sel_hi:[1,0,1]
	v_pk_fma_f32 v[6:7], v[4:5], s[2:3], v[12:13] op_sel_hi:[1,0,1]
	v_pk_fma_f32 v[4:5], v[4:5], s[2:3], v[10:11] op_sel_hi:[1,0,1]
	v_mov_b32_e32 v3, v101
	ds_write_b64 v75, v[0:1] offset:480
	v_mad_legacy_u16 v0, v16, s3, v17
	ds_write2_b64 v75, v[4:5], v[6:7] offset0:30 offset1:45
	v_pk_add_f32 v[4:5], v[2:3], v[68:69] neg_lo:[0,1] neg_hi:[0,1]
	v_pk_add_f32 v[6:7], v[114:115], v[70:71] neg_lo:[0,1] neg_hi:[0,1]
	v_lshlrev_b32_e32 v79, 3, v0
	v_pk_add_f32 v[0:1], v[68:69], v[70:71]
	v_pk_add_f32 v[4:5], v[4:5], v[6:7]
	v_pk_fma_f32 v[0:1], v[0:1], 0.5, v[50:51] op_sel_hi:[1,0,1] neg_lo:[1,0,0] neg_hi:[1,0,0]
	v_pk_add_f32 v[6:7], v[2:3], v[114:115] neg_lo:[0,1] neg_hi:[0,1]
	v_pk_add_f32 v[10:11], v[68:69], v[70:71] neg_lo:[0,1] neg_hi:[0,1]
	v_pk_fma_f32 v[8:9], v[6:7], s[6:7], v[0:1] op_sel:[1,0,0] op_sel_hi:[0,0,1] neg_lo:[1,0,0] neg_hi:[1,0,0]
	v_pk_fma_f32 v[0:1], v[6:7], s[6:7], v[0:1] op_sel:[1,0,0] op_sel_hi:[0,0,1]
	v_pk_add_f32 v[12:13], v[50:51], v[2:3]
	v_pk_fma_f32 v[0:1], v[10:11], s[8:9], v[0:1] op_sel:[1,0,0] op_sel_hi:[0,0,1]
	v_pk_fma_f32 v[8:9], v[10:11], s[8:9], v[8:9] op_sel:[1,0,0] op_sel_hi:[0,0,1] neg_lo:[1,0,0] neg_hi:[1,0,0]
	v_pk_add_f32 v[12:13], v[12:13], v[68:69]
	v_mov_b32_e32 v15, v1
	v_pk_add_f32 v[12:13], v[12:13], v[70:71]
	v_mov_b32_e32 v1, v9
	v_pk_add_f32 v[12:13], v[12:13], v[114:115]
	v_pk_fma_f32 v[0:1], v[4:5], s[2:3], v[0:1] op_sel_hi:[1,0,1]
	ds_write2_b64 v79, v[12:13], v[0:1] offset1:15
	v_pk_add_f32 v[0:1], v[2:3], v[114:115]
	v_pk_add_f32 v[2:3], v[68:69], v[2:3] neg_lo:[0,1] neg_hi:[0,1]
	v_pk_fma_f32 v[0:1], v[0:1], 0.5, v[50:51] op_sel_hi:[1,0,1] neg_lo:[1,0,0] neg_hi:[1,0,0]
	v_pk_add_f32 v[12:13], v[70:71], v[114:115] neg_lo:[0,1] neg_hi:[0,1]
	v_mov_b32_e32 v14, v8
	v_pk_add_f32 v[2:3], v[2:3], v[12:13]
	v_pk_fma_f32 v[12:13], v[10:11], s[6:7], v[0:1] op_sel:[1,0,0] op_sel_hi:[0,0,1]
	v_pk_fma_f32 v[0:1], v[10:11], s[6:7], v[0:1] op_sel:[1,0,0] op_sel_hi:[0,0,1] neg_lo:[1,0,0] neg_hi:[1,0,0]
	v_pk_fma_f32 v[0:1], v[6:7], s[8:9], v[0:1] op_sel:[1,0,0] op_sel_hi:[0,0,1]
	v_pk_fma_f32 v[6:7], v[6:7], s[8:9], v[12:13] op_sel:[1,0,0] op_sel_hi:[0,0,1] neg_lo:[1,0,0] neg_hi:[1,0,0]
	v_mov_b32_e32 v10, v6
	v_mov_b32_e32 v11, v1
	;; [unrolled: 1-line block ×3, first 2 shown]
	v_pk_fma_f32 v[6:7], v[2:3], s[2:3], v[10:11] op_sel_hi:[1,0,1]
	v_pk_fma_f32 v[0:1], v[2:3], s[2:3], v[0:1] op_sel_hi:[1,0,1]
	ds_write2_b64 v79, v[0:1], v[6:7] offset0:30 offset1:45
	v_pk_fma_f32 v[0:1], v[4:5], s[2:3], v[14:15] op_sel_hi:[1,0,1]
	s_mov_b32 s7, 0xb4e9
	ds_write_b64 v79, v[0:1] offset:480
	v_mul_u32_u24_sdwa v0, v108, s7 dst_sel:DWORD dst_unused:UNUSED_PAD src0_sel:WORD_0 src1_sel:DWORD
	v_sub_u16_sdwa v1, v108, v0 dst_sel:DWORD dst_unused:UNUSED_PAD src0_sel:DWORD src1_sel:WORD_1
	v_lshrrev_b16_e32 v1, 1, v1
	v_add_u16_sdwa v2, v1, v0 dst_sel:DWORD dst_unused:UNUSED_PAD src0_sel:DWORD src1_sel:WORD_1
	v_lshrrev_b16_e32 v16, 6, v2
	v_mul_lo_u16_e32 v2, 0x4b, v16
	v_sub_u16_e32 v17, v108, v2
	v_mul_lo_u16_e32 v2, 0x48, v17
	v_mov_b32_e32 v3, v97
	v_lshl_add_u64 v[2:3], s[10:11], 0, v[2:3]
	s_waitcnt lgkmcnt(0)
	s_barrier
	global_load_dwordx4 v[48:51], v[2:3], off offset:576
	global_load_dwordx4 v[68:71], v[2:3], off offset:592
	ds_read2_b64 v[100:103], v59 offset0:116 offset1:241
	s_movk_i32 s9, 0xdb
	v_mul_lo_u16_sdwa v0, v110, s9 dst_sel:DWORD dst_unused:UNUSED_PAD src0_sel:BYTE_0 src1_sel:DWORD
	v_lshrrev_b16_e32 v18, 14, v0
	v_cmp_gt_u16_e32 vcc, s3, v224
	v_mul_lo_u16_e32 v0, 0x4b, v18
	v_sub_u16_e32 v0, v110, v0
	s_movk_i32 s7, 0x48
	v_and_b32_e32 v19, 0xff, v0
	v_mov_b64_e32 v[0:1], s[10:11]
	v_mad_u64_u32 v[0:1], s[14:15], v19, s7, v[0:1]
	v_mov_b32_e32 v33, v188
	s_mov_b32 s14, 0x3f4f1bbd
	v_mul_u32_u24_e32 v18, 0x2ee, v18
	v_add_lshl_u32 v107, v18, v19, 3
	v_mov_b32_e32 v36, v109
	s_waitcnt vmcnt(1) lgkmcnt(0)
	v_pk_mul_f32 v[4:5], v[102:103], v[48:49] op_sel_hi:[1,0]
	v_mov_b32_e32 v6, v49
	v_pk_fma_f32 v[112:113], v[102:103], v[6:7], v[4:5] op_sel:[0,0,1] op_sel_hi:[1,1,0]
	v_pk_fma_f32 v[102:103], v[102:103], v[48:49], v[4:5] op_sel:[0,1,1] op_sel_hi:[1,1,0] neg_lo:[1,0,0] neg_hi:[1,0,0]
	v_add_u32_e32 v4, 0xffffffb5, v224
	v_cndmask_b32_e32 v32, v4, v224, vcc
	v_mul_hi_i32_i24_e32 v5, 0x48, v32
	v_mul_i32_i24_e32 v4, 0x48, v32
	v_lshl_add_u64 v[8:9], s[10:11], 0, v[4:5]
	global_load_dwordx2 v[38:39], v[8:9], off offset:640
	global_load_dwordx4 v[116:119], v[0:1], off offset:576
	s_waitcnt vmcnt(2)
	v_mov_b32_e32 v12, v69
	v_mov_b32_e32 v113, v103
	v_accvgpr_write_b32 a194, v51
	v_accvgpr_write_b32 a208, v71
	s_waitcnt vmcnt(1)
	v_accvgpr_write_b32 a235, v39
	s_waitcnt vmcnt(0)
	v_pk_mul_f32 v[4:5], v[100:101], v[116:117] op_sel:[0,1]
	v_accvgpr_write_b32 a190, v119
	v_pk_fma_f32 v[146:147], v[100:101], v[116:117], v[4:5] op_sel:[0,0,1] op_sel_hi:[1,1,0] neg_lo:[0,0,1] neg_hi:[0,0,1]
	v_pk_fma_f32 v[212:213], v[100:101], v[116:117], v[4:5] op_sel:[0,0,1] op_sel_hi:[1,0,0]
	ds_read2_b64 v[4:7], v93 offset0:98 offset1:223
	global_load_dwordx4 v[136:139], v[0:1], off offset:592
	global_load_dwordx4 v[148:151], v[0:1], off offset:608
	;; [unrolled: 1-line block ×5, first 2 shown]
	v_mov_b32_e32 v147, v213
	s_waitcnt lgkmcnt(0)
	v_pk_mul_f32 v[10:11], v[6:7], v[68:69] op_sel_hi:[1,0]
	v_accvgpr_write_b32 a234, v38
	v_pk_fma_f32 v[114:115], v[6:7], v[12:13], v[10:11] op_sel:[0,0,1] op_sel_hi:[1,1,0]
	v_pk_fma_f32 v[24:25], v[6:7], v[68:69], v[10:11] op_sel:[0,1,1] op_sel_hi:[1,1,0] neg_lo:[1,0,0] neg_hi:[1,0,0]
	ds_read2_b64 v[10:13], v200 offset0:80 offset1:205
	v_mov_b32_e32 v115, v25
	s_waitcnt vmcnt(4)
	v_pk_mul_f32 v[6:7], v[4:5], v[136:137] op_sel:[0,1]
	s_nop 0
	v_pk_fma_f32 v[152:153], v[4:5], v[136:137], v[6:7] op_sel:[0,0,1] op_sel_hi:[1,1,0] neg_lo:[0,0,1] neg_hi:[0,0,1]
	v_pk_fma_f32 v[4:5], v[4:5], v[136:137], v[6:7] op_sel:[0,0,1] op_sel_hi:[1,0,0]
	s_waitcnt vmcnt(2) lgkmcnt(0)
	v_pk_mul_f32 v[6:7], v[12:13], v[160:161] op_sel_hi:[1,0]
	v_mov_b32_e32 v4, v161
	v_pk_fma_f32 v[120:121], v[12:13], v[4:5], v[6:7] op_sel:[0,0,1] op_sel_hi:[1,1,0]
	v_pk_fma_f32 v[26:27], v[12:13], v[160:161], v[6:7] op_sel:[0,1,1] op_sel_hi:[1,1,0] neg_lo:[1,0,0] neg_hi:[1,0,0]
	v_pk_mul_f32 v[6:7], v[10:11], v[148:149] op_sel:[0,1]
	s_waitcnt vmcnt(1)
	v_mov_b32_e32 v4, v169
	v_pk_fma_f32 v[154:155], v[10:11], v[148:149], v[6:7] op_sel:[0,0,1] op_sel_hi:[1,1,0] neg_lo:[0,0,1] neg_hi:[0,0,1]
	v_pk_fma_f32 v[6:7], v[10:11], v[148:149], v[6:7] op_sel:[0,0,1] op_sel_hi:[1,0,0]
	ds_read2_b64 v[10:13], v203 offset0:62 offset1:187
	v_mov_b32_e32 v121, v27
	v_accvgpr_write_b32 a198, v139
	v_mov_b32_e32 v153, v5
	v_mov_b32_e32 v155, v7
	s_waitcnt lgkmcnt(0)
	v_pk_mul_f32 v[14:15], v[12:13], v[168:169] op_sel_hi:[1,0]
	v_accvgpr_write_b32 a222, v163
	v_pk_fma_f32 v[122:123], v[12:13], v[4:5], v[14:15] op_sel:[0,0,1] op_sel_hi:[1,1,0]
	v_pk_fma_f32 v[28:29], v[12:13], v[168:169], v[14:15] op_sel:[0,1,1] op_sel_hi:[1,1,0] neg_lo:[1,0,0] neg_hi:[1,0,0]
	s_waitcnt vmcnt(0)
	v_pk_mul_f32 v[12:13], v[10:11], v[172:173] op_sel:[0,1]
	v_mov_b32_e32 v123, v29
	v_pk_fma_f32 v[164:165], v[10:11], v[172:173], v[12:13] op_sel:[0,0,1] op_sel_hi:[1,1,0] neg_lo:[0,0,1] neg_hi:[0,0,1]
	v_pk_fma_f32 v[208:209], v[10:11], v[172:173], v[12:13] op_sel:[0,0,1] op_sel_hi:[1,0,0]
	global_load_dwordx2 v[14:15], v[2:3], off offset:640
	global_load_dwordx2 v[12:13], v[0:1], off offset:640
	ds_read2_b64 v[0:3], v202 offset0:44 offset1:169
	v_mov_b32_e32 v165, v209
	v_accvgpr_write_b32 a232, v171
	v_accvgpr_write_b32 a228, v175
	;; [unrolled: 1-line block ×3, first 2 shown]
	s_waitcnt vmcnt(1) lgkmcnt(0)
	v_pk_mul_f32 v[10:11], v[2:3], v[14:15] op_sel_hi:[1,0]
	v_mov_b32_e32 v4, v15
	v_pk_fma_f32 v[130:131], v[2:3], v[4:5], v[10:11] op_sel:[0,0,1] op_sel_hi:[1,1,0]
	v_pk_fma_f32 v[30:31], v[2:3], v[14:15], v[10:11] op_sel:[0,1,1] op_sel_hi:[1,1,0] neg_lo:[1,0,0] neg_hi:[1,0,0]
	s_waitcnt vmcnt(0)
	v_pk_mul_f32 v[2:3], v[0:1], v[12:13] op_sel:[0,1]
	v_accvgpr_write_b32 a237, v13
	v_pk_fma_f32 v[166:167], v[0:1], v[12:13], v[2:3] op_sel:[0,0,1] op_sel_hi:[1,1,0] neg_lo:[0,0,1] neg_hi:[0,0,1]
	v_pk_fma_f32 v[10:11], v[0:1], v[12:13], v[2:3] op_sel:[0,0,1] op_sel_hi:[1,0,0]
	ds_read2_b64 v[0:3], v190 offset0:110 offset1:235
	global_load_dwordx4 v[140:143], v[8:9], off offset:576
	global_load_dwordx4 v[156:159], v[8:9], off offset:592
	v_mov_b32_e32 v4, v119
	v_accvgpr_write_b32 a236, v12
	v_accvgpr_write_b32 a239, v15
	s_waitcnt lgkmcnt(0)
	v_pk_mul_f32 v[12:13], v[2:3], v[4:5] op_sel_hi:[1,0]
	v_accvgpr_write_b32 a238, v14
	v_pk_fma_f32 v[182:183], v[2:3], v[118:119], v[12:13] op_sel:[0,0,1] op_sel_hi:[1,1,0] neg_lo:[0,0,1] neg_hi:[0,0,1]
	v_pk_fma_f32 v[12:13], v[2:3], v[118:119], v[12:13] op_sel:[0,0,1] op_sel_hi:[1,0,0]
	v_mov_b32_e32 v131, v31
	v_mov_b32_e32 v183, v13
	;; [unrolled: 1-line block ×3, first 2 shown]
	s_waitcnt vmcnt(1)
	v_mov_b32_e32 v4, v143
	v_pk_mul_f32 v[2:3], v[0:1], v[4:5] op_sel_hi:[1,0]
	v_mov_b32_e32 v4, v51
	v_pk_fma_f32 v[34:35], v[0:1], v[142:143], v[2:3] op_sel:[0,0,1] op_sel_hi:[1,1,0] neg_lo:[0,0,1] neg_hi:[0,0,1]
	v_pk_fma_f32 v[42:43], v[0:1], v[142:143], v[2:3] op_sel:[0,0,1] op_sel_hi:[1,0,0]
	ds_read2_b64 v[0:3], v188 offset0:104 offset1:229
	v_mov_b32_e32 v35, v43
	v_accvgpr_write_b32 a192, v143
	v_add_u32_e32 v143, 0x800, v107
	s_waitcnt vmcnt(0)
	v_accvgpr_write_b32 a200, v159
	s_waitcnt lgkmcnt(0)
	v_pk_mul_f32 v[14:15], v[0:1], v[4:5] op_sel_hi:[1,0]
	v_mov_b32_e32 v4, v139
	v_pk_fma_f32 v[132:133], v[0:1], v[50:51], v[14:15] op_sel:[0,0,1] op_sel_hi:[1,1,0] neg_lo:[0,0,1] neg_hi:[0,0,1]
	v_pk_fma_f32 v[100:101], v[0:1], v[50:51], v[14:15] op_sel:[0,0,1] op_sel_hi:[1,0,0]
	v_pk_mul_f32 v[0:1], v[2:3], v[156:157] op_sel:[0,1]
	v_mov_b32_e32 v133, v101
	v_pk_fma_f32 v[210:211], v[2:3], v[156:157], v[0:1] op_sel:[0,0,1] op_sel_hi:[1,1,0] neg_lo:[0,0,1] neg_hi:[0,0,1]
	v_pk_fma_f32 v[180:181], v[2:3], v[156:157], v[0:1] op_sel:[0,0,1] op_sel_hi:[1,0,0]
	ds_read2_b64 v[0:3], v90 offset0:92 offset1:217
	v_mov_b32_e32 v211, v181
	v_mov_b32_e32 v51, v92
	s_waitcnt lgkmcnt(0)
	v_pk_mul_f32 v[14:15], v[2:3], v[4:5] op_sel_hi:[1,0]
	v_mov_b32_e32 v4, v159
	v_pk_fma_f32 v[192:193], v[2:3], v[138:139], v[14:15] op_sel:[0,0,1] op_sel_hi:[1,1,0] neg_lo:[0,0,1] neg_hi:[0,0,1]
	v_pk_fma_f32 v[14:15], v[2:3], v[138:139], v[14:15] op_sel:[0,0,1] op_sel_hi:[1,0,0]
	v_pk_mul_f32 v[2:3], v[0:1], v[4:5] op_sel_hi:[1,0]
	v_mov_b32_e32 v4, v71
	v_pk_fma_f32 v[216:217], v[0:1], v[158:159], v[2:3] op_sel:[0,0,1] op_sel_hi:[1,1,0] neg_lo:[0,0,1] neg_hi:[0,0,1]
	v_pk_fma_f32 v[184:185], v[0:1], v[158:159], v[2:3] op_sel:[0,0,1] op_sel_hi:[1,0,0]
	ds_read2_b64 v[0:3], v189 offset0:86 offset1:211
	global_load_dwordx4 v[176:179], v[8:9], off offset:608
	global_load_dwordx4 v[188:191], v[8:9], off offset:624
	ds_read2_b64 v[100:103], v91 offset0:122 offset1:247
	v_mov_b32_e32 v217, v185
	v_mov_b32_e32 v193, v15
	s_waitcnt lgkmcnt(1)
	v_pk_mul_f32 v[20:21], v[0:1], v[4:5] op_sel_hi:[1,0]
	v_mov_b32_e32 v4, v151
	v_pk_fma_f32 v[134:135], v[0:1], v[70:71], v[20:21] op_sel:[0,0,1] op_sel_hi:[1,1,0] neg_lo:[0,0,1] neg_hi:[0,0,1]
	v_pk_fma_f32 v[186:187], v[0:1], v[70:71], v[20:21] op_sel:[0,0,1] op_sel_hi:[1,0,0]
	v_mov_b32_e32 v71, v93
	v_mov_b32_e32 v135, v187
	s_waitcnt vmcnt(1)
	v_pk_mul_f32 v[0:1], v[2:3], v[176:177] op_sel:[0,1]
	s_nop 0
	v_pk_fma_f32 v[8:9], v[2:3], v[176:177], v[0:1] op_sel:[0,0,1] op_sel_hi:[1,1,0] neg_lo:[0,0,1] neg_hi:[0,0,1]
	v_pk_fma_f32 v[194:195], v[2:3], v[176:177], v[0:1] op_sel:[0,0,1] op_sel_hi:[1,0,0]
	ds_read2_b64 v[0:3], v111 offset0:74 offset1:199
	v_mov_b32_e32 v9, v195
	s_waitcnt vmcnt(0)
	v_accvgpr_write_b32 a230, v191
	v_accvgpr_write_b32 a218, v179
	s_waitcnt lgkmcnt(0)
	v_pk_mul_f32 v[20:21], v[2:3], v[4:5] op_sel_hi:[1,0]
	v_mov_b32_e32 v4, v179
	v_pk_fma_f32 v[214:215], v[2:3], v[150:151], v[20:21] op_sel:[0,0,1] op_sel_hi:[1,1,0] neg_lo:[0,0,1] neg_hi:[0,0,1]
	v_pk_fma_f32 v[218:219], v[2:3], v[150:151], v[20:21] op_sel:[0,0,1] op_sel_hi:[1,0,0]
	v_pk_mul_f32 v[2:3], v[0:1], v[4:5] op_sel_hi:[1,0]
	v_mov_b32_e32 v4, v163
	v_pk_fma_f32 v[220:221], v[0:1], v[178:179], v[2:3] op_sel:[0,0,1] op_sel_hi:[1,1,0] neg_lo:[0,0,1] neg_hi:[0,0,1]
	v_pk_fma_f32 v[196:197], v[0:1], v[178:179], v[2:3] op_sel:[0,0,1] op_sel_hi:[1,0,0]
	ds_read2_b64 v[0:3], v92 offset0:68 offset1:193
	v_mov_b32_e32 v221, v197
	v_mov_b32_e32 v215, v219
	s_waitcnt lgkmcnt(0)
	v_pk_mul_f32 v[20:21], v[0:1], v[4:5] op_sel_hi:[1,0]
	s_nop 0
	v_pk_fma_f32 v[144:145], v[0:1], v[162:163], v[20:21] op_sel:[0,0,1] op_sel_hi:[1,1,0] neg_lo:[0,0,1] neg_hi:[0,0,1]
	v_pk_fma_f32 v[198:199], v[0:1], v[162:163], v[20:21] op_sel:[0,0,1] op_sel_hi:[1,0,0]
	v_pk_mul_f32 v[0:1], v[2:3], v[188:189] op_sel:[0,1]
	v_mov_b32_e32 v4, v175
	v_pk_fma_f32 v[222:223], v[2:3], v[188:189], v[0:1] op_sel:[0,0,1] op_sel_hi:[1,1,0] neg_lo:[0,0,1] neg_hi:[0,0,1]
	v_pk_fma_f32 v[226:227], v[2:3], v[188:189], v[0:1] op_sel:[0,0,1] op_sel_hi:[1,0,0]
	ds_read2_b64 v[0:3], v201 offset0:56 offset1:181
	v_mov_b32_e32 v145, v199
	v_pk_add_f32 v[186:187], v[134:135], v[144:145] neg_lo:[0,1] neg_hi:[0,1]
	v_mov_b32_e32 v223, v227
	v_pk_add_f32 v[226:227], v[216:217], v[220:221] neg_lo:[0,1] neg_hi:[0,1]
	s_waitcnt lgkmcnt(0)
	v_pk_mul_f32 v[20:21], v[2:3], v[4:5] op_sel_hi:[1,0]
	v_mov_b32_e32 v4, v191
	v_pk_fma_f32 v[206:207], v[2:3], v[174:175], v[20:21] op_sel:[0,0,1] op_sel_hi:[1,1,0] neg_lo:[0,0,1] neg_hi:[0,0,1]
	v_pk_fma_f32 v[228:229], v[2:3], v[174:175], v[20:21] op_sel:[0,0,1] op_sel_hi:[1,0,0]
	ds_read2_b64 v[20:23], v109 offset0:50 offset1:175
	v_pk_mul_f32 v[2:3], v[0:1], v[4:5] op_sel_hi:[1,0]
	v_mov_b32_e32 v4, 0x2ee
	v_pk_fma_f32 v[230:231], v[0:1], v[190:191], v[2:3] op_sel:[0,0,1] op_sel_hi:[1,1,0] neg_lo:[0,0,1] neg_hi:[0,0,1]
	v_pk_fma_f32 v[2:3], v[0:1], v[190:191], v[2:3] op_sel:[0,0,1] op_sel_hi:[1,0,0]
	v_mov_b32_e32 v0, v171
	s_waitcnt lgkmcnt(0)
	v_pk_mul_f32 v[232:233], v[20:21], v[0:1] op_sel_hi:[1,0]
	v_mov_b32_e32 v231, v3
	v_pk_fma_f32 v[0:1], v[20:21], v[170:171], v[232:233] op_sel:[0,0,1] op_sel_hi:[1,1,0] neg_lo:[0,0,1] neg_hi:[0,0,1]
	v_pk_fma_f32 v[20:21], v[20:21], v[170:171], v[232:233] op_sel:[0,0,1] op_sel_hi:[1,0,0]
	v_pk_mul_f32 v[232:233], v[22:23], v[38:39] op_sel:[0,1]
	v_mov_b32_e32 v1, v21
	v_pk_mul_f32 v[20:21], v[102:103], v[140:141] op_sel:[0,1]
	v_pk_fma_f32 v[234:235], v[22:23], v[38:39], v[232:233] op_sel:[0,0,1] op_sel_hi:[1,1,0] neg_lo:[0,0,1] neg_hi:[0,0,1]
	v_pk_fma_f32 v[24:25], v[102:103], v[140:141], v[20:21] op_sel:[0,0,1] op_sel_hi:[1,1,0] neg_lo:[0,0,1] neg_hi:[0,0,1]
	v_pk_fma_f32 v[20:21], v[102:103], v[140:141], v[20:21] op_sel:[0,0,1] op_sel_hi:[1,0,0]
	v_pk_fma_f32 v[22:23], v[22:23], v[38:39], v[232:233] op_sel:[0,0,1] op_sel_hi:[1,0,0]
	v_mov_b32_e32 v25, v21
	v_pk_add_f32 v[2:3], v[34:35], v[216:217] neg_lo:[0,1] neg_hi:[0,1]
	v_pk_add_f32 v[20:21], v[230:231], v[220:221] neg_lo:[0,1] neg_hi:[0,1]
	v_mov_b32_e32 v235, v23
	v_pk_add_f32 v[26:27], v[2:3], v[20:21]
	ds_read2_b64 v[20:23], v96 offset1:125
	v_pk_add_f32 v[2:3], v[216:217], v[220:221]
	v_pk_add_f32 v[28:29], v[34:35], v[230:231] neg_lo:[0,1] neg_hi:[0,1]
	v_pk_add_f32 v[180:181], v[132:133], v[0:1] neg_lo:[0,1] neg_hi:[0,1]
	v_pk_mul_f32 v[30:31], v[28:29], s[6:7] op_sel_hi:[1,0]
	s_waitcnt lgkmcnt(0)
	v_pk_fma_f32 v[2:3], v[2:3], 0.5, v[20:21] op_sel_hi:[1,0,1] neg_lo:[1,0,0] neg_hi:[1,0,0]
	v_pk_add_f32 v[236:237], v[234:235], v[222:223] neg_lo:[0,1] neg_hi:[0,1]
	v_pk_add_f32 v[42:43], v[2:3], v[30:31] op_sel:[0,1] op_sel_hi:[1,0]
	v_pk_add_f32 v[30:31], v[2:3], v[30:31] op_sel:[0,1] op_sel_hi:[1,0] neg_lo:[0,1] neg_hi:[0,1]
	v_pk_add_f32 v[2:3], v[134:135], v[144:145]
	v_pk_add_f32 v[238:239], v[210:211], v[234:235] neg_lo:[0,1] neg_hi:[0,1]
	v_pk_fma_f32 v[2:3], v[2:3], 0.5, v[100:101] op_sel_hi:[1,0,1] neg_lo:[1,0,0] neg_hi:[1,0,0]
	v_pk_mul_f32 v[240:241], v[238:239], s[6:7] op_sel_hi:[1,0]
	v_pk_fma_f32 v[102:103], v[180:181], s[6:7], v[2:3] op_sel:[1,0,0] op_sel_hi:[0,0,1] neg_lo:[1,0,0] neg_hi:[1,0,0]
	v_pk_fma_f32 v[194:195], v[186:187], s[8:9], v[102:103] op_sel:[1,0,0] op_sel_hi:[0,0,1] neg_lo:[1,0,0] neg_hi:[1,0,0]
	v_pk_add_f32 v[102:103], v[120:121], v[122:123]
	v_pk_fma_f32 v[2:3], v[180:181], s[6:7], v[2:3] op_sel:[1,0,0] op_sel_hi:[0,0,1]
	v_pk_fma_f32 v[184:185], v[102:103], 0.5, v[112:113] op_sel_hi:[1,0,1] neg_lo:[1,0,0] neg_hi:[1,0,0]
	v_pk_add_f32 v[102:103], v[114:115], v[130:131] neg_lo:[0,1] neg_hi:[0,1]
	v_pk_fma_f32 v[2:3], v[186:187], s[8:9], v[2:3] op_sel:[1,0,0] op_sel_hi:[0,0,1]
	v_pk_fma_f32 v[198:199], v[102:103], s[6:7], v[184:185] op_sel:[1,0,0] op_sel_hi:[0,0,1]
	v_pk_fma_f32 v[196:197], v[102:103], s[6:7], v[184:185] op_sel:[1,0,0] op_sel_hi:[0,0,1] neg_lo:[1,0,0] neg_hi:[1,0,0]
	v_pk_add_f32 v[184:185], v[120:121], v[122:123] neg_lo:[0,1] neg_hi:[0,1]
	s_nop 0
	v_pk_fma_f32 v[196:197], v[184:185], s[8:9], v[196:197] op_sel:[1,0,0] op_sel_hi:[0,0,1] neg_lo:[1,0,0] neg_hi:[1,0,0]
	v_pk_fma_f32 v[198:199], v[184:185], s[8:9], v[198:199] op_sel:[1,0,0] op_sel_hi:[0,0,1]
	s_mov_b32 s9, 0xbf167918
	v_pk_mul_f32 v[232:233], v[226:227], s[8:9] op_sel_hi:[1,0]
	v_pk_mul_f32 v[28:29], v[28:29], s[8:9] op_sel_hi:[1,0]
	v_pk_add_f32 v[30:31], v[30:31], v[232:233] op_sel:[0,1] op_sel_hi:[1,0] neg_lo:[0,1] neg_hi:[0,1]
	v_pk_add_f32 v[42:43], v[42:43], v[232:233] op_sel:[0,1] op_sel_hi:[1,0]
	v_pk_add_f32 v[232:233], v[210:211], v[8:9] neg_lo:[0,1] neg_hi:[0,1]
	v_mov_b32_e32 v250, v42
	v_pk_add_f32 v[232:233], v[232:233], v[236:237]
	v_pk_add_f32 v[236:237], v[8:9], v[222:223]
	v_mov_b32_e32 v251, v31
	v_pk_fma_f32 v[236:237], v[236:237], 0.5, v[24:25] op_sel_hi:[1,0,1] neg_lo:[1,0,0] neg_hi:[1,0,0]
	v_mov_b32_e32 v31, v43
	v_pk_add_f32 v[242:243], v[236:237], v[240:241] op_sel:[0,1] op_sel_hi:[1,0]
	v_pk_add_f32 v[236:237], v[236:237], v[240:241] op_sel:[0,1] op_sel_hi:[1,0] neg_lo:[0,1] neg_hi:[0,1]
	v_pk_add_f32 v[240:241], v[8:9], v[222:223] neg_lo:[0,1] neg_hi:[0,1]
	s_barrier
	v_pk_mul_f32 v[244:245], v[240:241], s[8:9] op_sel_hi:[1,0]
	s_nop 0
	v_pk_add_f32 v[236:237], v[236:237], v[244:245] op_sel:[0,1] op_sel_hi:[1,0] neg_lo:[0,1] neg_hi:[0,1]
	v_pk_add_f32 v[242:243], v[242:243], v[244:245] op_sel:[0,1] op_sel_hi:[1,0]
	v_mov_b32_e32 v245, v237
	v_mov_b32_e32 v244, v242
	v_pk_fma_f32 v[244:245], v[232:233], s[2:3], v[244:245] op_sel_hi:[1,0,1]
	s_movk_i32 s3, 0x4a
	v_pk_mul_f32 v[246:247], v[244:245], s[8:9] op_sel_hi:[1,0]
	v_cmp_lt_u16_e32 vcc, s3, v224
	v_pk_fma_f32 v[248:249], v[244:245], s[14:15], v[246:247] op_sel:[0,0,1] op_sel_hi:[1,0,0]
	v_pk_fma_f32 v[244:245], v[244:245], s[14:15], v[246:247] op_sel:[0,0,1] op_sel_hi:[1,0,0] neg_lo:[0,0,1] neg_hi:[0,0,1]
	v_pk_add_f32 v[246:247], v[24:25], v[210:211]
	v_mov_b32_e32 v249, v245
	v_pk_add_f32 v[244:245], v[20:21], v[34:35]
	v_pk_add_f32 v[246:247], v[246:247], v[8:9]
	v_pk_add_f32 v[244:245], v[244:245], v[216:217]
	v_pk_add_f32 v[216:217], v[216:217], v[34:35] neg_lo:[0,1] neg_hi:[0,1]
	v_pk_add_f32 v[244:245], v[244:245], v[220:221]
	v_pk_add_f32 v[34:35], v[34:35], v[230:231]
	v_pk_add_f32 v[220:221], v[220:221], v[230:231] neg_lo:[0,1] neg_hi:[0,1]
	v_pk_add_f32 v[8:9], v[8:9], v[210:211] neg_lo:[0,1] neg_hi:[0,1]
	v_pk_add_f32 v[216:217], v[216:217], v[220:221]
	v_pk_add_f32 v[220:221], v[210:211], v[234:235]
	v_pk_add_f32 v[210:211], v[222:223], v[234:235] neg_lo:[0,1] neg_hi:[0,1]
	v_pk_fma_f32 v[20:21], v[34:35], 0.5, v[20:21] op_sel_hi:[1,0,1] neg_lo:[1,0,0] neg_hi:[1,0,0]
	v_pk_mul_f32 v[34:35], v[226:227], s[6:7] op_sel_hi:[1,0]
	v_pk_fma_f32 v[24:25], v[220:221], 0.5, v[24:25] op_sel_hi:[1,0,1] neg_lo:[1,0,0] neg_hi:[1,0,0]
	v_pk_add_f32 v[8:9], v[8:9], v[210:211]
	v_pk_add_f32 v[210:211], v[20:21], v[34:35] op_sel:[0,1] op_sel_hi:[1,0] neg_lo:[0,1] neg_hi:[0,1]
	v_pk_add_f32 v[20:21], v[20:21], v[34:35] op_sel:[0,1] op_sel_hi:[1,0]
	v_pk_mul_f32 v[34:35], v[240:241], s[6:7] op_sel_hi:[1,0]
	v_pk_add_f32 v[20:21], v[20:21], v[28:29] op_sel:[0,1] op_sel_hi:[1,0] neg_lo:[0,1] neg_hi:[0,1]
	v_pk_add_f32 v[28:29], v[210:211], v[28:29] op_sel:[0,1] op_sel_hi:[1,0]
	v_pk_add_f32 v[210:211], v[24:25], v[34:35] op_sel:[0,1] op_sel_hi:[1,0] neg_lo:[0,1] neg_hi:[0,1]
	v_pk_add_f32 v[24:25], v[24:25], v[34:35] op_sel:[0,1] op_sel_hi:[1,0]
	v_pk_mul_f32 v[34:35], v[238:239], s[8:9] op_sel_hi:[1,0]
	v_pk_add_f32 v[246:247], v[246:247], v[222:223]
	v_pk_add_f32 v[24:25], v[24:25], v[34:35] op_sel:[0,1] op_sel_hi:[1,0] neg_lo:[0,1] neg_hi:[0,1]
	v_pk_add_f32 v[34:35], v[210:211], v[34:35] op_sel:[0,1] op_sel_hi:[1,0]
	v_mov_b32_e32 v211, v25
	v_mov_b32_e32 v210, v34
	v_pk_fma_f32 v[210:211], v[8:9], s[2:3], v[210:211] op_sel_hi:[1,0,1]
	v_mov_b32_e32 v25, v35
	v_pk_mul_f32 v[220:221], v[210:211], s[6:7] op_sel_hi:[1,0]
	v_pk_fma_f32 v[8:9], v[8:9], s[2:3], v[24:25] op_sel_hi:[1,0,1]
	v_pk_fma_f32 v[222:223], v[210:211], s[2:3], v[220:221] op_sel:[0,0,1] op_sel_hi:[1,0,0]
	v_pk_fma_f32 v[210:211], v[210:211], s[2:3], v[220:221] op_sel:[0,0,1] op_sel_hi:[1,0,0] neg_lo:[0,0,1] neg_hi:[0,0,1]
	v_pk_mul_f32 v[24:25], v[8:9], s[2:3] op_sel_hi:[1,0]
	v_mov_b32_e32 v223, v211
	v_mov_b32_e32 v210, v28
	;; [unrolled: 1-line block ×4, first 2 shown]
	v_cndmask_b32_e32 v4, 0, v4, vcc
	v_pk_fma_f32 v[28:29], v[216:217], s[2:3], v[210:211] op_sel_hi:[1,0,1]
	v_pk_fma_f32 v[20:21], v[216:217], s[2:3], v[20:21] op_sel_hi:[1,0,1]
	v_pk_fma_f32 v[8:9], v[8:9], s[16:17], v[24:25] op_sel:[0,0,1] op_sel_hi:[1,1,0] neg_lo:[0,0,1] neg_hi:[0,0,1]
	v_add_lshl_u32 v191, v32, v4, 3
	v_pk_add_f32 v[24:25], v[28:29], v[222:223]
	v_pk_add_f32 v[34:35], v[20:21], v[8:9] op_sel:[0,1] op_sel_hi:[1,0]
	v_mov_b32_e32 v237, v243
	v_pk_fma_f32 v[250:251], v[26:27], s[2:3], v[250:251] op_sel_hi:[1,0,1]
	ds_write2_b64 v191, v[24:25], v[34:35] offset0:150 offset1:225
	v_pk_fma_f32 v[24:25], v[26:27], s[2:3], v[30:31] op_sel_hi:[1,0,1]
	v_pk_fma_f32 v[26:27], v[232:233], s[2:3], v[236:237] op_sel_hi:[1,0,1]
	s_mov_b32 s18, s9
	v_pk_mul_f32 v[30:31], v[26:27], s[14:15] op_sel_hi:[1,0]
	v_pk_add_f32 v[244:245], v[244:245], v[230:231]
	v_pk_add_f32 v[246:247], v[246:247], v[234:235]
	v_pk_fma_f32 v[26:27], v[26:27], s[18:19], v[30:31] op_sel:[0,0,1] op_sel_hi:[1,1,0] neg_lo:[0,0,1] neg_hi:[0,0,1]
	v_pk_add_f32 v[30:31], v[244:245], v[246:247] neg_lo:[0,1] neg_hi:[0,1]
	v_add_u32_e32 v4, 0x800, v191
	v_pk_add_f32 v[34:35], v[24:25], v[26:27] op_sel:[0,1] op_sel_hi:[1,0]
	v_mov_b32_e32 v207, v229
	ds_write2_b64 v4, v[34:35], v[30:31] offset0:44 offset1:119
	v_accvgpr_write_b32 a101, v4
	v_pk_add_f32 v[8:9], v[20:21], v[8:9] op_sel:[0,1] op_sel_hi:[1,0] neg_lo:[0,1] neg_hi:[0,1]
	v_pk_add_f32 v[20:21], v[24:25], v[26:27] op_sel:[0,1] op_sel_hi:[1,0] neg_lo:[0,1] neg_hi:[0,1]
	v_add_u32_e32 v139, 0x1000, v191
	v_pk_add_f32 v[4:5], v[182:183], v[192:193] neg_lo:[0,1] neg_hi:[0,1]
	v_pk_add_f32 v[6:7], v[206:207], v[214:215] neg_lo:[0,1] neg_hi:[0,1]
	ds_write2_b64 v139, v[8:9], v[20:21] offset0:88 offset1:163
	v_pk_add_f32 v[4:5], v[4:5], v[6:7]
	v_pk_add_f32 v[6:7], v[192:193], v[214:215]
	v_pk_add_f32 v[8:9], v[182:183], v[206:207] neg_lo:[0,1] neg_hi:[0,1]
	v_pk_fma_f32 v[6:7], v[6:7], 0.5, v[22:23] op_sel_hi:[1,0,1] neg_lo:[1,0,0] neg_hi:[1,0,0]
	v_pk_mul_f32 v[10:11], v[8:9], s[6:7] op_sel_hi:[1,0]
	v_pk_add_f32 v[20:21], v[166:167], v[164:165] neg_lo:[0,1] neg_hi:[0,1]
	v_pk_add_f32 v[12:13], v[6:7], v[10:11] op_sel:[0,1] op_sel_hi:[1,0]
	v_pk_add_f32 v[6:7], v[6:7], v[10:11] op_sel:[0,1] op_sel_hi:[1,0] neg_lo:[0,1] neg_hi:[0,1]
	v_pk_add_f32 v[10:11], v[192:193], v[214:215] neg_lo:[0,1] neg_hi:[0,1]
	v_pk_add_f32 v[24:25], v[152:153], v[166:167] neg_lo:[0,1] neg_hi:[0,1]
	v_pk_mul_f32 v[14:15], v[10:11], s[8:9] op_sel_hi:[1,0]
	v_pk_add_f32 v[30:31], v[250:251], v[248:249] neg_lo:[0,1] neg_hi:[0,1]
	v_pk_add_f32 v[6:7], v[6:7], v[14:15] op_sel:[0,1] op_sel_hi:[1,0] neg_lo:[0,1] neg_hi:[0,1]
	v_pk_add_f32 v[12:13], v[12:13], v[14:15] op_sel:[0,1] op_sel_hi:[1,0]
	v_pk_add_f32 v[14:15], v[152:153], v[154:155] neg_lo:[0,1] neg_hi:[0,1]
	v_pk_add_f32 v[28:29], v[28:29], v[222:223] neg_lo:[0,1] neg_hi:[0,1]
	v_pk_add_f32 v[14:15], v[14:15], v[20:21]
	v_pk_add_f32 v[20:21], v[154:155], v[164:165]
	v_add_u32_e32 v119, 0xc00, v191
	v_pk_fma_f32 v[20:21], v[20:21], 0.5, v[146:147] op_sel_hi:[1,0,1] neg_lo:[1,0,0] neg_hi:[1,0,0]
	v_pk_mul_f32 v[26:27], v[24:25], s[6:7] op_sel_hi:[1,0]
	ds_write2_b64 v119, v[30:31], v[28:29] offset0:66 offset1:141
	v_pk_add_f32 v[28:29], v[20:21], v[26:27] op_sel:[0,1] op_sel_hi:[1,0]
	v_pk_add_f32 v[20:21], v[20:21], v[26:27] op_sel:[0,1] op_sel_hi:[1,0] neg_lo:[0,1] neg_hi:[0,1]
	v_pk_add_f32 v[26:27], v[154:155], v[164:165] neg_lo:[0,1] neg_hi:[0,1]
	v_pk_add_f32 v[18:19], v[22:23], v[182:183]
	v_pk_mul_f32 v[30:31], v[26:27], s[8:9] op_sel_hi:[1,0]
	v_pk_add_f32 v[18:19], v[18:19], v[192:193]
	v_pk_add_f32 v[20:21], v[20:21], v[30:31] op_sel:[0,1] op_sel_hi:[1,0] neg_lo:[0,1] neg_hi:[0,1]
	v_pk_add_f32 v[28:29], v[28:29], v[30:31] op_sel:[0,1] op_sel_hi:[1,0]
	v_mov_b32_e32 v31, v21
	v_mov_b32_e32 v30, v28
	v_pk_fma_f32 v[30:31], v[14:15], s[2:3], v[30:31] op_sel_hi:[1,0,1]
	v_pk_add_f32 v[18:19], v[18:19], v[214:215]
	v_pk_mul_f32 v[34:35], v[30:31], s[8:9] op_sel_hi:[1,0]
	v_pk_add_f32 v[18:19], v[18:19], v[206:207]
	v_pk_fma_f32 v[42:43], v[30:31], s[14:15], v[34:35] op_sel:[0,0,1] op_sel_hi:[1,0,0]
	v_pk_fma_f32 v[30:31], v[30:31], s[14:15], v[34:35] op_sel:[0,0,1] op_sel_hi:[1,0,0] neg_lo:[0,0,1] neg_hi:[0,0,1]
	v_mov_b32_e32 v34, v12
	v_mov_b32_e32 v43, v31
	v_pk_add_f32 v[30:31], v[146:147], v[152:153]
	v_mov_b32_e32 v35, v7
	v_pk_add_f32 v[30:31], v[30:31], v[154:155]
	v_pk_fma_f32 v[34:35], v[4:5], s[2:3], v[34:35] op_sel_hi:[1,0,1]
	v_pk_add_f32 v[30:31], v[30:31], v[164:165]
	v_pk_add_f32 v[252:253], v[244:245], v[246:247]
	;; [unrolled: 1-line block ×6, first 2 shown]
	ds_write2_b64 v191, v[252:253], v[254:255] offset1:75
	ds_write2_b64 v107, v[208:209], v[210:211] offset1:75
	v_pk_add_f32 v[208:209], v[182:183], v[206:207]
	v_pk_add_f32 v[182:183], v[192:193], v[182:183] neg_lo:[0,1] neg_hi:[0,1]
	v_pk_add_f32 v[192:193], v[214:215], v[206:207] neg_lo:[0,1] neg_hi:[0,1]
	v_pk_fma_f32 v[22:23], v[208:209], 0.5, v[22:23] op_sel_hi:[1,0,1] neg_lo:[1,0,0] neg_hi:[1,0,0]
	v_pk_add_f32 v[182:183], v[182:183], v[192:193]
	v_pk_add_f32 v[192:193], v[152:153], v[166:167]
	v_pk_add_f32 v[152:153], v[154:155], v[152:153] neg_lo:[0,1] neg_hi:[0,1]
	v_pk_add_f32 v[154:155], v[164:165], v[166:167] neg_lo:[0,1] neg_hi:[0,1]
	v_pk_mul_f32 v[10:11], v[10:11], s[6:7] op_sel_hi:[1,0]
	v_pk_fma_f32 v[146:147], v[192:193], 0.5, v[146:147] op_sel_hi:[1,0,1] neg_lo:[1,0,0] neg_hi:[1,0,0]
	v_pk_add_f32 v[152:153], v[152:153], v[154:155]
	v_pk_add_f32 v[154:155], v[22:23], v[10:11] op_sel:[0,1] op_sel_hi:[1,0] neg_lo:[0,1] neg_hi:[0,1]
	v_pk_add_f32 v[10:11], v[22:23], v[10:11] op_sel:[0,1] op_sel_hi:[1,0]
	v_pk_mul_f32 v[22:23], v[26:27], s[6:7] op_sel_hi:[1,0]
	v_pk_mul_f32 v[24:25], v[24:25], s[8:9] op_sel_hi:[1,0]
	v_pk_add_f32 v[26:27], v[146:147], v[22:23] op_sel:[0,1] op_sel_hi:[1,0] neg_lo:[0,1] neg_hi:[0,1]
	v_pk_add_f32 v[22:23], v[146:147], v[22:23] op_sel:[0,1] op_sel_hi:[1,0]
	v_mov_b32_e32 v7, v13
	v_pk_add_f32 v[22:23], v[22:23], v[24:25] op_sel:[0,1] op_sel_hi:[1,0] neg_lo:[0,1] neg_hi:[0,1]
	v_pk_add_f32 v[24:25], v[26:27], v[24:25] op_sel:[0,1] op_sel_hi:[1,0]
	v_mov_b32_e32 v27, v23
	v_mov_b32_e32 v26, v24
	v_pk_fma_f32 v[26:27], v[152:153], s[2:3], v[26:27] op_sel_hi:[1,0,1]
	v_mov_b32_e32 v21, v29
	v_pk_mul_f32 v[8:9], v[8:9], s[8:9] op_sel_hi:[1,0]
	v_pk_mul_f32 v[146:147], v[26:27], s[6:7] op_sel_hi:[1,0]
	v_pk_fma_f32 v[4:5], v[4:5], s[2:3], v[6:7] op_sel_hi:[1,0,1]
	v_pk_fma_f32 v[6:7], v[14:15], s[2:3], v[20:21] op_sel_hi:[1,0,1]
	v_pk_add_f32 v[10:11], v[10:11], v[8:9] op_sel:[0,1] op_sel_hi:[1,0] neg_lo:[0,1] neg_hi:[0,1]
	v_pk_add_f32 v[8:9], v[154:155], v[8:9] op_sel:[0,1] op_sel_hi:[1,0]
	v_pk_fma_f32 v[154:155], v[26:27], s[2:3], v[146:147] op_sel:[0,0,1] op_sel_hi:[1,0,0]
	v_pk_fma_f32 v[26:27], v[26:27], s[2:3], v[146:147] op_sel:[0,0,1] op_sel_hi:[1,0,0] neg_lo:[0,0,1] neg_hi:[0,0,1]
	v_mov_b32_e32 v23, v25
	v_pk_mul_f32 v[12:13], v[6:7], s[14:15] op_sel_hi:[1,0]
	v_mov_b32_e32 v155, v27
	v_mov_b32_e32 v26, v8
	;; [unrolled: 1-line block ×3, first 2 shown]
	v_pk_fma_f32 v[22:23], v[152:153], s[2:3], v[22:23] op_sel_hi:[1,0,1]
	v_pk_fma_f32 v[6:7], v[6:7], s[18:19], v[12:13] op_sel:[0,0,1] op_sel_hi:[1,1,0] neg_lo:[0,0,1] neg_hi:[0,0,1]
	v_mov_b32_e32 v11, v9
	v_pk_fma_f32 v[8:9], v[182:183], s[2:3], v[26:27] op_sel_hi:[1,0,1]
	v_pk_mul_f32 v[24:25], v[22:23], s[2:3] op_sel_hi:[1,0]
	v_pk_add_f32 v[12:13], v[18:19], v[30:31] neg_lo:[0,1] neg_hi:[0,1]
	v_pk_add_f32 v[14:15], v[4:5], v[6:7] op_sel:[0,1] op_sel_hi:[1,0]
	v_pk_fma_f32 v[10:11], v[182:183], s[2:3], v[10:11] op_sel_hi:[1,0,1]
	v_pk_fma_f32 v[22:23], v[22:23], s[16:17], v[24:25] op_sel:[0,0,1] op_sel_hi:[1,1,0] neg_lo:[0,0,1] neg_hi:[0,0,1]
	v_pk_add_f32 v[24:25], v[8:9], v[154:155]
	ds_write2_b64 v143, v[14:15], v[12:13] offset0:44 offset1:119
	v_pk_add_f32 v[12:13], v[34:35], v[42:43] neg_lo:[0,1] neg_hi:[0,1]
	v_pk_add_f32 v[8:9], v[8:9], v[154:155] neg_lo:[0,1] neg_hi:[0,1]
	v_add_u32_e32 v163, 0xc00, v107
	ds_write2_b64 v163, v[12:13], v[8:9] offset0:66 offset1:141
	v_pk_add_f32 v[8:9], v[10:11], v[22:23] op_sel:[0,1] op_sel_hi:[1,0] neg_lo:[0,1] neg_hi:[0,1]
	v_pk_add_f32 v[4:5], v[4:5], v[6:7] op_sel:[0,1] op_sel_hi:[1,0] neg_lo:[0,1] neg_hi:[0,1]
	v_add_u32_e32 v171, 0x1000, v107
	ds_write2_b64 v171, v[8:9], v[4:5] offset0:88 offset1:163
	v_pk_add_f32 v[4:5], v[132:133], v[134:135] neg_lo:[0,1] neg_hi:[0,1]
	v_pk_add_f32 v[6:7], v[0:1], v[144:145] neg_lo:[0,1] neg_hi:[0,1]
	;; [unrolled: 1-line block ×3, first 2 shown]
	v_pk_add_f32 v[4:5], v[4:5], v[6:7]
	v_pk_add_f32 v[6:7], v[114:115], v[120:121] neg_lo:[0,1] neg_hi:[0,1]
	v_pk_add_f32 v[26:27], v[10:11], v[22:23] op_sel:[0,1] op_sel_hi:[1,0]
	v_pk_add_f32 v[6:7], v[6:7], v[8:9]
	v_mov_b32_e32 v8, v198
	v_mov_b32_e32 v9, v197
	v_pk_fma_f32 v[8:9], v[6:7], s[2:3], v[8:9] op_sel_hi:[1,0,1]
	s_movk_i32 s3, 0x2ee
	v_pk_mul_f32 v[10:11], v[8:9], s[14:15] op_sel_hi:[1,0]
	v_pk_add_f32 v[12:13], v[100:101], v[132:133]
	v_pk_fma_f32 v[8:9], v[8:9], s[8:9], v[10:11] op_sel:[0,0,1] op_sel_hi:[1,1,0] neg_lo:[0,0,1] neg_hi:[0,0,1]
	v_mad_legacy_u16 v10, v16, s3, v17
	v_pk_add_f32 v[14:15], v[112:113], v[114:115]
	v_lshlrev_b32_e32 v179, 3, v10
	v_mov_b32_e32 v10, v194
	v_mov_b32_e32 v11, v3
	v_pk_add_f32 v[12:13], v[12:13], v[134:135]
	v_pk_add_f32 v[14:15], v[14:15], v[120:121]
	v_mov_b32_e32 v3, v195
	v_mov_b32_e32 v197, v199
	v_pk_fma_f32 v[10:11], v[4:5], s[2:3], v[10:11] op_sel_hi:[1,0,1]
	v_pk_add_f32 v[12:13], v[12:13], v[144:145]
	v_pk_add_f32 v[14:15], v[14:15], v[122:123]
	v_pk_fma_f32 v[2:3], v[4:5], s[2:3], v[2:3] op_sel_hi:[1,0,1]
	v_pk_fma_f32 v[4:5], v[6:7], s[2:3], v[196:197] op_sel_hi:[1,0,1]
	v_pk_add_f32 v[12:13], v[12:13], v[0:1]
	v_pk_add_f32 v[14:15], v[14:15], v[130:131]
	v_pk_mul_f32 v[6:7], v[4:5], s[8:9] op_sel_hi:[1,0]
	v_pk_add_f32 v[18:19], v[12:13], v[14:15] op_sel:[0,1] op_sel_hi:[1,0] neg_lo:[0,1] neg_hi:[0,1]
	v_pk_add_f32 v[12:13], v[12:13], v[14:15] op_sel:[0,1] op_sel_hi:[1,0]
	v_pk_fma_f32 v[14:15], v[4:5], s[14:15], v[6:7] op_sel:[0,0,1] op_sel_hi:[1,0,0]
	v_add_u32_e32 v175, 0x800, v179
	v_pk_add_f32 v[16:17], v[10:11], v[8:9]
	v_pk_fma_f32 v[4:5], v[4:5], s[14:15], v[6:7] op_sel:[0,0,1] op_sel_hi:[1,0,0] neg_lo:[0,0,1] neg_hi:[0,0,1]
	v_mov_b32_e32 v6, v15
	v_pk_add_f32 v[14:15], v[114:115], v[130:131]
	ds_write2_b64 v107, v[24:25], v[26:27] offset0:150 offset1:225
	ds_write2_b64 v175, v[16:17], v[18:19] offset0:44 offset1:119
	v_mov_b32_e32 v7, v4
	v_pk_fma_f32 v[14:15], v[14:15], 0.5, v[112:113] op_sel_hi:[1,0,1] neg_lo:[1,0,0] neg_hi:[1,0,0]
	v_pk_add_f32 v[16:17], v[120:121], v[114:115] neg_lo:[0,1] neg_hi:[0,1]
	v_pk_add_f32 v[18:19], v[122:123], v[130:131] neg_lo:[0,1] neg_hi:[0,1]
	v_pk_add_f32 v[4:5], v[2:3], v[6:7]
	v_pk_add_f32 v[16:17], v[16:17], v[18:19]
	v_pk_fma_f32 v[18:19], v[184:185], s[6:7], v[14:15] op_sel:[1,0,0] op_sel_hi:[0,0,1] neg_lo:[1,0,0] neg_hi:[1,0,0]
	v_pk_fma_f32 v[14:15], v[184:185], s[6:7], v[14:15] op_sel:[1,0,0] op_sel_hi:[0,0,1]
	ds_write2_b64 v179, v[12:13], v[4:5] offset1:75
	v_pk_add_f32 v[4:5], v[132:133], v[0:1]
	v_pk_fma_f32 v[14:15], v[102:103], s[8:9], v[14:15] op_sel:[1,0,0] op_sel_hi:[0,0,1] neg_lo:[1,0,0] neg_hi:[1,0,0]
	v_pk_fma_f32 v[18:19], v[102:103], s[8:9], v[18:19] op_sel:[1,0,0] op_sel_hi:[0,0,1]
	v_pk_fma_f32 v[4:5], v[4:5], 0.5, v[100:101] op_sel_hi:[1,0,1] neg_lo:[1,0,0] neg_hi:[1,0,0]
	v_pk_add_f32 v[12:13], v[134:135], v[132:133] neg_lo:[0,1] neg_hi:[0,1]
	v_pk_add_f32 v[0:1], v[144:145], v[0:1] neg_lo:[0,1] neg_hi:[0,1]
	v_mov_b32_e32 v20, v18
	v_mov_b32_e32 v21, v15
	v_pk_add_f32 v[0:1], v[12:13], v[0:1]
	v_pk_fma_f32 v[12:13], v[186:187], s[6:7], v[4:5] op_sel:[1,0,0] op_sel_hi:[0,0,1]
	v_pk_fma_f32 v[4:5], v[186:187], s[6:7], v[4:5] op_sel:[1,0,0] op_sel_hi:[0,0,1] neg_lo:[1,0,0] neg_hi:[1,0,0]
	v_pk_fma_f32 v[20:21], v[16:17], s[2:3], v[20:21] op_sel_hi:[1,0,1]
	v_pk_fma_f32 v[4:5], v[180:181], s[8:9], v[4:5] op_sel:[1,0,0] op_sel_hi:[0,0,1]
	v_pk_fma_f32 v[12:13], v[180:181], s[8:9], v[12:13] op_sel:[1,0,0] op_sel_hi:[0,0,1] neg_lo:[1,0,0] neg_hi:[1,0,0]
	s_mov_b32 s7, s16
	v_pk_mul_f32 v[22:23], v[20:21], s[2:3] op_sel_hi:[1,0]
	v_mov_b32_e32 v15, v19
	v_pk_fma_f32 v[20:21], v[20:21], s[6:7], v[22:23] op_sel:[0,0,1] op_sel_hi:[1,1,0] neg_lo:[0,0,1] neg_hi:[0,0,1]
	v_mov_b32_e32 v22, v12
	v_mov_b32_e32 v23, v5
	;; [unrolled: 1-line block ×3, first 2 shown]
	v_pk_fma_f32 v[12:13], v[0:1], s[2:3], v[22:23] op_sel_hi:[1,0,1]
	v_pk_fma_f32 v[0:1], v[0:1], s[2:3], v[4:5] op_sel_hi:[1,0,1]
	;; [unrolled: 1-line block ×3, first 2 shown]
	v_pk_add_f32 v[2:3], v[2:3], v[6:7] neg_lo:[0,1] neg_hi:[0,1]
	v_pk_mul_f32 v[14:15], v[4:5], s[6:7] op_sel_hi:[1,0]
	v_add_u32_e32 v151, 0xc00, v179
	v_pk_fma_f32 v[16:17], v[4:5], s[2:3], v[14:15] op_sel:[0,0,1] op_sel_hi:[1,0,0]
	v_pk_fma_f32 v[4:5], v[4:5], s[2:3], v[14:15] op_sel:[0,0,1] op_sel_hi:[1,0,0] neg_lo:[0,0,1] neg_hi:[0,0,1]
	v_mov_b32_e32 v14, v17
	v_mov_b32_e32 v15, v4
	v_pk_add_f32 v[16:17], v[0:1], v[14:15]
	v_pk_add_f32 v[0:1], v[0:1], v[14:15] neg_lo:[0,1] neg_hi:[0,1]
	ds_write2_b64 v151, v[2:3], v[0:1] offset0:66 offset1:141
	v_pk_add_f32 v[0:1], v[10:11], v[8:9] neg_lo:[0,1] neg_hi:[0,1]
	v_pk_add_f32 v[2:3], v[12:13], v[20:21] neg_lo:[0,1] neg_hi:[0,1]
	v_add_u32_e32 v159, 0x1000, v179
	ds_write2_b64 v159, v[2:3], v[0:1] offset0:88 offset1:163
	v_lshlrev_b32_e32 v0, 5, v224
	v_mov_b32_e32 v1, v97
	v_pk_add_f32 v[4:5], v[12:13], v[20:21]
	v_lshl_add_u64 v[0:1], s[10:11], 0, v[0:1]
	ds_write2_b64 v179, v[16:17], v[4:5] offset0:150 offset1:225
	v_add_co_u32_e32 v2, vcc, s13, v0
	v_lshlrev_b32_e32 v4, 5, v110
	v_mov_b32_e32 v5, v97
	v_addc_co_u32_e32 v3, vcc, 0, v1, vcc
	v_lshl_add_u64 v[4:5], s[10:11], 0, v[4:5]
	s_mov_b64 s[16:17], 0x1758
	v_add_co_u32_e32 v6, vcc, s13, v4
	s_waitcnt lgkmcnt(0)
	s_barrier
	v_lshl_add_u64 v[0:1], v[0:1], 0, s[16:17]
	v_addc_co_u32_e32 v7, vcc, 0, v5, vcc
	global_load_dwordx4 v[112:115], v[2:3], off offset:1880
	global_load_dwordx4 v[100:103], v[0:1], off offset:16
	v_lshl_add_u64 v[8:9], v[4:5], 0, s[16:17]
	ds_read2_b64 v[2:5], v55 offset0:110 offset1:235
	global_load_dwordx4 v[144:147], v[6:7], off offset:1880
	global_load_dwordx4 v[120:123], v[8:9], off offset:16
	v_lshlrev_b32_e32 v20, 5, v128
	v_mov_b32_e32 v21, v97
	v_lshl_add_u64 v[20:21], s[10:11], 0, v[20:21]
	v_lshl_add_u64 v[216:217], v[124:125], 0, s[16:17]
	s_mov_b32 s15, s8
	s_waitcnt vmcnt(3) lgkmcnt(0)
	v_pk_mul_f32 v[0:1], v[2:3], v[112:113] op_sel:[0,1]
	s_nop 0
	v_pk_fma_f32 v[42:43], v[2:3], v[112:113], v[0:1] op_sel:[0,0,1] op_sel_hi:[1,1,0] neg_lo:[0,0,1] neg_hi:[0,0,1]
	v_pk_fma_f32 v[0:1], v[2:3], v[112:113], v[0:1] op_sel:[0,0,1] op_sel_hi:[1,0,0]
	s_waitcnt vmcnt(1)
	v_pk_mul_f32 v[2:3], v[4:5], v[144:145] op_sel:[0,1]
	v_mov_b32_e32 v0, v115
	v_pk_fma_f32 v[232:233], v[4:5], v[144:145], v[2:3] op_sel:[0,0,1] op_sel_hi:[1,1,0] neg_lo:[0,0,1] neg_hi:[0,0,1]
	v_pk_fma_f32 v[6:7], v[4:5], v[144:145], v[2:3] op_sel:[0,0,1] op_sel_hi:[1,0,0]
	ds_read2_b64 v[2:5], v90 offset0:92 offset1:217
	v_accvgpr_write_b32 a214, v115
	v_mov_b32_e32 v43, v1
	v_mov_b32_e32 v233, v7
	s_waitcnt vmcnt(0)
	v_accvgpr_write_b32 a196, v123
	s_waitcnt lgkmcnt(0)
	v_pk_mul_f32 v[8:9], v[2:3], v[0:1] op_sel_hi:[1,0]
	v_mov_b32_e32 v0, v147
	v_pk_fma_f32 v[248:249], v[2:3], v[114:115], v[8:9] op_sel:[0,0,1] op_sel_hi:[1,1,0] neg_lo:[0,0,1] neg_hi:[0,0,1]
	v_pk_fma_f32 v[8:9], v[2:3], v[114:115], v[8:9] op_sel:[0,0,1] op_sel_hi:[1,0,0]
	v_pk_mul_f32 v[2:3], v[4:5], v[0:1] op_sel_hi:[1,0]
	v_mov_b32_e32 v0, v103
	v_pk_fma_f32 v[246:247], v[4:5], v[146:147], v[2:3] op_sel:[0,0,1] op_sel_hi:[1,1,0] neg_lo:[0,0,1] neg_hi:[0,0,1]
	v_pk_fma_f32 v[10:11], v[4:5], v[146:147], v[2:3] op_sel:[0,0,1] op_sel_hi:[1,0,0]
	ds_read2_b64 v[2:5], v111 offset0:74 offset1:199
	v_mov_b32_e32 v103, v201
	v_accvgpr_write_b32 a206, v0
	v_mov_b32_e32 v115, v33
	v_mov_b32_e32 v249, v9
	s_waitcnt lgkmcnt(0)
	v_pk_mul_f32 v[12:13], v[2:3], v[100:101] op_sel:[0,1]
	v_mov_b32_e32 v247, v11
	v_pk_fma_f32 v[226:227], v[2:3], v[100:101], v[12:13] op_sel:[0,0,1] op_sel_hi:[1,1,0] neg_lo:[0,0,1] neg_hi:[0,0,1]
	v_pk_fma_f32 v[12:13], v[2:3], v[100:101], v[12:13] op_sel:[0,0,1] op_sel_hi:[1,0,0]
	v_pk_mul_f32 v[2:3], v[4:5], v[120:121] op_sel:[0,1]
	v_mov_b32_e32 v227, v13
	v_pk_fma_f32 v[254:255], v[4:5], v[120:121], v[2:3] op_sel:[0,0,1] op_sel_hi:[1,1,0] neg_lo:[0,0,1] neg_hi:[0,0,1]
	v_pk_fma_f32 v[14:15], v[4:5], v[120:121], v[2:3] op_sel:[0,0,1] op_sel_hi:[1,0,0]
	ds_read2_b64 v[2:5], v201 offset0:56 offset1:181
	v_mov_b32_e32 v255, v15
	v_accvgpr_write_b32 a204, v147
	v_mov_b32_e32 v147, v59
	s_waitcnt lgkmcnt(0)
	v_pk_mul_f32 v[16:17], v[2:3], v[0:1] op_sel_hi:[1,0]
	v_mov_b32_e32 v0, v123
	v_pk_fma_f32 v[212:213], v[2:3], v[102:103], v[16:17] op_sel:[0,0,1] op_sel_hi:[1,1,0] neg_lo:[0,0,1] neg_hi:[0,0,1]
	v_pk_fma_f32 v[16:17], v[2:3], v[102:103], v[16:17] op_sel:[0,0,1] op_sel_hi:[1,0,0]
	v_pk_mul_f32 v[2:3], v[4:5], v[0:1] op_sel_hi:[1,0]
	v_mov_b32_e32 v213, v17
	v_pk_fma_f32 v[220:221], v[4:5], v[122:123], v[2:3] op_sel:[0,0,1] op_sel_hi:[1,1,0] neg_lo:[0,0,1] neg_hi:[0,0,1]
	v_pk_fma_f32 v[18:19], v[4:5], v[122:123], v[2:3] op_sel:[0,0,1] op_sel_hi:[1,0,0]
	v_lshlrev_b32_e32 v2, 5, v108
	v_mov_b32_e32 v3, v97
	v_lshl_add_u64 v[2:3], s[10:11], 0, v[2:3]
	v_add_co_u32_e32 v4, vcc, s13, v2
	v_mov_b32_e32 v221, v19
	s_nop 0
	v_addc_co_u32_e32 v5, vcc, 0, v3, vcc
	v_lshl_add_u64 v[2:3], v[2:3], 0, s[16:17]
	v_add_co_u32_e32 v22, vcc, s13, v20
	global_load_dwordx4 v[164:167], v[4:5], off offset:1880
	global_load_dwordx4 v[132:135], v[2:3], off offset:16
	v_addc_co_u32_e32 v23, vcc, 0, v21, vcc
	v_lshl_add_u64 v[20:21], v[20:21], 0, s[16:17]
	ds_read2_b64 v[2:5], v33 offset0:104 offset1:229
	global_load_dwordx4 v[152:155], v[22:23], off offset:1880
	global_load_dwordx4 v[128:131], v[20:21], off offset:16
	ds_read2_b64 v[108:111], v109 offset0:50 offset1:175
	ds_read2_b64 v[16:19], v96 offset1:125
	v_mov_b32_e32 v123, v36
	v_pk_add_f32 v[88:89], v[254:255], v[220:221] neg_lo:[0,1] neg_hi:[0,1]
	s_waitcnt vmcnt(3) lgkmcnt(2)
	v_pk_mul_f32 v[24:25], v[2:3], v[164:165] op_sel:[0,1]
	s_nop 0
	v_pk_fma_f32 v[244:245], v[2:3], v[164:165], v[24:25] op_sel:[0,0,1] op_sel_hi:[1,1,0] neg_lo:[0,0,1] neg_hi:[0,0,1]
	v_pk_fma_f32 v[2:3], v[2:3], v[164:165], v[24:25] op_sel:[0,0,1] op_sel_hi:[1,0,0]
	v_mov_b32_e32 v0, v167
	v_mov_b32_e32 v245, v3
	s_waitcnt vmcnt(1)
	v_pk_mul_f32 v[2:3], v[4:5], v[152:153] op_sel:[0,1]
	v_accvgpr_write_b32 a212, v155
	v_pk_fma_f32 v[242:243], v[4:5], v[152:153], v[2:3] op_sel:[0,0,1] op_sel_hi:[1,1,0] neg_lo:[0,0,1] neg_hi:[0,0,1]
	v_pk_fma_f32 v[206:207], v[4:5], v[152:153], v[2:3] op_sel:[0,0,1] op_sel_hi:[1,0,0]
	ds_read2_b64 v[2:5], v37 offset0:86 offset1:211
	v_accvgpr_write_b32 a210, v135
	v_mov_b32_e32 v206, v37
	v_pk_add_f32 v[36:37], v[226:227], v[212:213] neg_lo:[0,1] neg_hi:[0,1]
	v_mov_b32_e32 v243, v207
	s_waitcnt lgkmcnt(0)
	v_pk_mul_f32 v[20:21], v[2:3], v[0:1] op_sel_hi:[1,0]
	v_mov_b32_e32 v0, v155
	v_pk_fma_f32 v[214:215], v[2:3], v[166:167], v[20:21] op_sel:[0,0,1] op_sel_hi:[1,1,0] neg_lo:[0,0,1] neg_hi:[0,0,1]
	v_pk_fma_f32 v[32:33], v[2:3], v[166:167], v[20:21] op_sel:[0,0,1] op_sel_hi:[1,0,0]
	v_pk_mul_f32 v[2:3], v[4:5], v[0:1] op_sel_hi:[1,0]
	v_mov_b32_e32 v0, v135
	v_pk_fma_f32 v[230:231], v[4:5], v[154:155], v[2:3] op_sel:[0,0,1] op_sel_hi:[1,1,0] neg_lo:[0,0,1] neg_hi:[0,0,1]
	v_pk_fma_f32 v[34:35], v[4:5], v[154:155], v[2:3] op_sel:[0,0,1] op_sel_hi:[1,0,0]
	ds_read2_b64 v[2:5], v92 offset0:68 offset1:193
	ds_read2_b64 v[196:199], v91 offset0:122 offset1:247
	;; [unrolled: 1-line block ×5, first 2 shown]
	v_mov_b32_e32 v155, v203
	s_waitcnt lgkmcnt(4)
	v_pk_mul_f32 v[20:21], v[2:3], v[132:133] op_sel:[0,1]
	v_mov_b32_e32 v34, v91
	v_pk_fma_f32 v[210:211], v[2:3], v[132:133], v[20:21] op_sel:[0,0,1] op_sel_hi:[1,1,0] neg_lo:[0,0,1] neg_hi:[0,0,1]
	v_pk_fma_f32 v[28:29], v[2:3], v[132:133], v[20:21] op_sel:[0,0,1] op_sel_hi:[1,0,0]
	s_waitcnt vmcnt(0)
	v_pk_mul_f32 v[2:3], v[4:5], v[128:129] op_sel:[0,1]
	v_mov_b32_e32 v215, v33
	v_pk_fma_f32 v[240:241], v[4:5], v[128:129], v[2:3] op_sel:[0,0,1] op_sel_hi:[1,1,0] neg_lo:[0,0,1] neg_hi:[0,0,1]
	v_pk_fma_f32 v[26:27], v[4:5], v[128:129], v[2:3] op_sel:[0,0,1] op_sel_hi:[1,0,0]
	v_pk_mul_f32 v[2:3], v[108:109], v[0:1] op_sel_hi:[1,0]
	v_mov_b32_e32 v0, v131
	v_pk_fma_f32 v[208:209], v[108:109], v[134:135], v[2:3] op_sel:[0,0,1] op_sel_hi:[1,1,0] neg_lo:[0,0,1] neg_hi:[0,0,1]
	v_pk_fma_f32 v[24:25], v[108:109], v[134:135], v[2:3] op_sel:[0,0,1] op_sel_hi:[1,0,0]
	v_pk_mul_f32 v[2:3], v[110:111], v[0:1] op_sel_hi:[1,0]
	v_pk_add_f32 v[0:1], v[16:17], v[42:43]
	v_pk_fma_f32 v[252:253], v[110:111], v[130:131], v[2:3] op_sel:[0,0,1] op_sel_hi:[1,1,0] neg_lo:[0,0,1] neg_hi:[0,0,1]
	v_pk_add_f32 v[0:1], v[0:1], v[248:249]
	v_pk_fma_f32 v[22:23], v[110:111], v[130:131], v[2:3] op_sel:[0,0,1] op_sel_hi:[1,0,0]
	v_pk_add_f32 v[0:1], v[0:1], v[226:227]
	ds_read2_b64 v[4:7], v200 offset0:80 offset1:205
	v_pk_add_f32 v[108:109], v[0:1], v[212:213]
	v_pk_add_f32 v[0:1], v[18:19], v[232:233]
	;; [unrolled: 1-line block ×4, first 2 shown]
	v_mov_b32_e32 v135, v202
	v_pk_add_f32 v[0:1], v[0:1], v[254:255]
	v_pk_add_f32 v[202:203], v[232:233], v[220:221]
	;; [unrolled: 1-line block ×3, first 2 shown]
	ds_read2_b64 v[0:3], v93 offset0:98 offset1:223
	ds_write2_b64 v96, v[108:109], v[110:111] offset1:125
	v_lshlrev_b32_e32 v108, 5, v126
	v_mov_b32_e32 v109, v97
	v_lshl_add_u64 v[108:109], s[10:11], 0, v[108:109]
	v_add_co_u32_e32 v110, vcc, s13, v108
	v_mov_b32_e32 v211, v29
	s_nop 0
	v_addc_co_u32_e32 v111, vcc, 0, v109, vcc
	v_lshl_add_u64 v[108:109], v[108:109], 0, s[16:17]
	global_load_dwordx4 v[184:187], v[110:111], off offset:1880
	global_load_dwordx4 v[180:183], v[108:109], off offset:16
	v_add_co_u32_e32 v126, vcc, s13, v124
	v_mov_b32_e32 v209, v25
	s_nop 0
	v_addc_co_u32_e32 v127, vcc, 0, v125, vcc
	v_mov_b32_e32 v253, v23
	v_pk_add_f32 v[28:29], v[244:245], v[208:209]
	v_mov_b32_e32 v241, v27
	v_pk_add_f32 v[26:27], v[214:215], v[244:245] neg_lo:[0,1] neg_hi:[0,1]
	v_pk_add_f32 v[32:33], v[210:211], v[208:209] neg_lo:[0,1] neg_hi:[0,1]
	s_waitcnt lgkmcnt(6)
	v_pk_fma_f32 v[28:29], v[28:29], 0.5, v[196:197] op_sel_hi:[1,0,1] neg_lo:[1,0,0] neg_hi:[1,0,0]
	v_mov_b32_e32 v231, v35
	v_pk_add_f32 v[26:27], v[26:27], v[32:33]
	s_mov_b64 s[10:11], 0x7530
	v_accvgpr_write_b32 a220, v167
	v_mov_b32_e32 v167, v47
	v_mov_b32_e32 v97, v115
	v_accvgpr_write_b32 a202, v131
	v_mov_b32_e32 v131, v103
	s_waitcnt vmcnt(1) lgkmcnt(1)
	v_pk_mul_f32 v[108:109], v[0:1], v[184:185] op_sel:[0,1]
	s_nop 0
	v_pk_fma_f32 v[236:237], v[0:1], v[184:185], v[108:109] op_sel:[0,0,1] op_sel_hi:[1,1,0] neg_lo:[0,0,1] neg_hi:[0,0,1]
	v_pk_fma_f32 v[20:21], v[0:1], v[184:185], v[108:109] op_sel:[0,0,1] op_sel_hi:[1,0,0]
	global_load_dwordx4 v[124:127], v[126:127], off offset:1880
	s_nop 0
	global_load_dwordx4 v[108:111], v[216:217], off offset:16
	v_mov_b32_e32 v0, v187
	v_mov_b32_e32 v237, v21
	v_pk_add_f32 v[20:21], v[240:241], v[252:253] neg_lo:[0,1] neg_hi:[0,1]
	s_waitcnt vmcnt(2)
	v_accvgpr_write_b32 a226, v183
	v_accvgpr_write_b32 a224, v187
	s_waitcnt vmcnt(1)
	v_pk_mul_f32 v[30:31], v[2:3], v[124:125] op_sel:[0,1]
	s_nop 0
	v_pk_fma_f32 v[218:219], v[2:3], v[124:125], v[30:31] op_sel:[0,0,1] op_sel_hi:[1,1,0] neg_lo:[0,0,1] neg_hi:[0,0,1]
	v_pk_fma_f32 v[30:31], v[2:3], v[124:125], v[30:31] op_sel:[0,0,1] op_sel_hi:[1,0,0]
	v_pk_mul_f32 v[2:3], v[4:5], v[0:1] op_sel_hi:[1,0]
	v_mov_b32_e32 v0, v127
	v_pk_fma_f32 v[250:251], v[4:5], v[186:187], v[2:3] op_sel:[0,0,1] op_sel_hi:[1,1,0] neg_lo:[0,0,1] neg_hi:[0,0,1]
	v_pk_fma_f32 v[4:5], v[4:5], v[186:187], v[2:3] op_sel:[0,0,1] op_sel_hi:[1,0,0]
	v_pk_mul_f32 v[2:3], v[6:7], v[0:1] op_sel_hi:[1,0]
	v_mov_b32_e32 v0, v183
	v_pk_fma_f32 v[228:229], v[6:7], v[126:127], v[2:3] op_sel:[0,0,1] op_sel_hi:[1,1,0] neg_lo:[0,0,1] neg_hi:[0,0,1]
	v_pk_fma_f32 v[2:3], v[6:7], v[126:127], v[2:3] op_sel:[0,0,1] op_sel_hi:[1,0,0]
	v_pk_mul_f32 v[6:7], v[8:9], v[180:181] op_sel:[0,1]
	v_mov_b32_e32 v251, v5
	v_pk_fma_f32 v[222:223], v[8:9], v[180:181], v[6:7] op_sel:[0,0,1] op_sel_hi:[1,1,0] neg_lo:[0,0,1] neg_hi:[0,0,1]
	v_pk_fma_f32 v[6:7], v[8:9], v[180:181], v[6:7] op_sel:[0,0,1] op_sel_hi:[1,0,0]
	s_waitcnt vmcnt(0)
	v_pk_mul_f32 v[8:9], v[10:11], v[108:109] op_sel:[0,1]
	v_mov_b32_e32 v223, v7
	v_pk_fma_f32 v[234:235], v[10:11], v[108:109], v[8:9] op_sel:[0,0,1] op_sel_hi:[1,1,0] neg_lo:[0,0,1] neg_hi:[0,0,1]
	v_pk_fma_f32 v[10:11], v[10:11], v[108:109], v[8:9] op_sel:[0,0,1] op_sel_hi:[1,0,0]
	v_pk_mul_f32 v[8:9], v[12:13], v[0:1] op_sel_hi:[1,0]
	v_mov_b32_e32 v0, v111
	v_pk_fma_f32 v[216:217], v[12:13], v[182:183], v[8:9] op_sel:[0,0,1] op_sel_hi:[1,1,0] neg_lo:[0,0,1] neg_hi:[0,0,1]
	v_pk_fma_f32 v[12:13], v[12:13], v[182:183], v[8:9] op_sel:[0,0,1] op_sel_hi:[1,0,0]
	v_pk_mul_f32 v[8:9], v[14:15], v[0:1] op_sel_hi:[1,0]
	v_pk_add_f32 v[4:5], v[242:243], v[230:231] neg_lo:[0,1] neg_hi:[0,1]
	v_pk_fma_f32 v[238:239], v[14:15], v[110:111], v[8:9] op_sel:[0,0,1] op_sel_hi:[1,1,0] neg_lo:[0,0,1] neg_hi:[0,0,1]
	v_pk_fma_f32 v[8:9], v[14:15], v[110:111], v[8:9] op_sel:[0,0,1] op_sel_hi:[1,0,0]
	v_pk_add_f32 v[14:15], v[248:249], v[226:227]
	v_pk_add_f32 v[6:7], v[252:253], v[240:241] neg_lo:[0,1] neg_hi:[0,1]
	v_pk_fma_f32 v[14:15], v[14:15], 0.5, v[16:17] op_sel_hi:[1,0,1] neg_lo:[1,0,0] neg_hi:[1,0,0]
	v_pk_fma_f32 v[16:17], v[200:201], 0.5, v[16:17] op_sel_hi:[1,0,1] neg_lo:[1,0,0] neg_hi:[1,0,0]
	v_pk_add_f32 v[200:201], v[246:247], v[254:255]
	v_pk_add_f32 v[4:5], v[4:5], v[6:7]
	v_pk_fma_f32 v[200:201], v[200:201], 0.5, v[18:19] op_sel_hi:[1,0,1] neg_lo:[1,0,0] neg_hi:[1,0,0]
	v_pk_fma_f32 v[18:19], v[202:203], 0.5, v[18:19] op_sel_hi:[1,0,1] neg_lo:[1,0,0] neg_hi:[1,0,0]
	v_pk_add_f32 v[202:203], v[248:249], v[42:43] neg_lo:[0,1] neg_hi:[0,1]
	v_pk_add_f32 v[6:7], v[242:243], v[252:253] neg_lo:[0,1] neg_hi:[0,1]
	v_pk_add_f32 v[36:37], v[202:203], v[36:37]
	v_pk_add_f32 v[202:203], v[248:249], v[226:227] neg_lo:[0,1] neg_hi:[0,1]
	v_mov_b32_e32 v217, v13
	v_pk_mul_f32 v[38:39], v[202:203], s[6:7] op_sel_hi:[1,0]
	v_pk_mul_f32 v[12:13], v[6:7], s[6:7] op_sel_hi:[1,0]
	v_pk_add_f32 v[0:1], v[16:17], v[38:39] op_sel:[0,1] op_sel_hi:[1,0] neg_lo:[0,1] neg_hi:[0,1]
	v_pk_add_f32 v[16:17], v[16:17], v[38:39] op_sel:[0,1] op_sel_hi:[1,0]
	v_pk_add_f32 v[38:39], v[42:43], v[212:213] neg_lo:[0,1] neg_hi:[0,1]
	v_pk_mul_f32 v[6:7], v[6:7], s[8:9] op_sel_hi:[1,0]
	v_pk_mul_f32 v[204:205], v[38:39], s[8:9] op_sel_hi:[1,0]
	v_mov_b32_e32 v219, v31
	v_pk_add_f32 v[16:17], v[16:17], v[204:205] op_sel:[0,1] op_sel_hi:[1,0] neg_lo:[0,1] neg_hi:[0,1]
	v_pk_add_f32 v[0:1], v[0:1], v[204:205] op_sel:[0,1] op_sel_hi:[1,0]
	v_pk_add_f32 v[204:205], v[246:247], v[232:233] neg_lo:[0,1] neg_hi:[0,1]
	v_mov_b32_e32 v229, v3
	v_pk_add_f32 v[88:89], v[204:205], v[88:89]
	v_pk_add_f32 v[204:205], v[246:247], v[254:255] neg_lo:[0,1] neg_hi:[0,1]
	v_pk_add_f32 v[2:3], v[192:193], v[236:237]
	v_pk_mul_f32 v[90:91], v[204:205], s[6:7] op_sel_hi:[1,0]
	v_mov_b32_e32 v235, v11
	v_pk_add_f32 v[94:95], v[18:19], v[90:91] op_sel:[0,1] op_sel_hi:[1,0] neg_lo:[0,1] neg_hi:[0,1]
	v_pk_add_f32 v[18:19], v[18:19], v[90:91] op_sel:[0,1] op_sel_hi:[1,0]
	v_pk_add_f32 v[90:91], v[232:233], v[220:221] neg_lo:[0,1] neg_hi:[0,1]
	v_pk_add_f32 v[2:3], v[2:3], v[250:251]
	v_pk_mul_f32 v[92:93], v[90:91], s[8:9] op_sel_hi:[1,0]
	v_mov_b32_e32 v239, v9
	v_pk_add_f32 v[18:19], v[18:19], v[92:93] op_sel:[0,1] op_sel_hi:[1,0] neg_lo:[0,1] neg_hi:[0,1]
	v_pk_add_f32 v[98:99], v[94:95], v[92:93] op_sel:[0,1] op_sel_hi:[1,0]
	v_mov_b32_e32 v95, v17
	v_mov_b32_e32 v93, v19
	;; [unrolled: 1-line block ×5, first 2 shown]
	v_pk_fma_f32 v[0:1], v[36:37], s[2:3], v[16:17] op_sel_hi:[1,0,1]
	v_pk_fma_f32 v[16:17], v[88:89], s[2:3], v[18:19] op_sel_hi:[1,0,1]
	ds_write2_b64 v87, v[0:1], v[16:17] offset0:74 offset1:199
	v_pk_add_f32 v[0:1], v[42:43], v[248:249] neg_lo:[0,1] neg_hi:[0,1]
	v_pk_add_f32 v[16:17], v[212:213], v[226:227] neg_lo:[0,1] neg_hi:[0,1]
	v_pk_fma_f32 v[94:95], v[36:37], s[2:3], v[94:95] op_sel_hi:[1,0,1]
	v_pk_add_f32 v[0:1], v[0:1], v[16:17]
	v_pk_mul_f32 v[16:17], v[38:39], s[6:7] op_sel_hi:[1,0]
	v_pk_add_f32 v[36:37], v[220:221], v[254:255] neg_lo:[0,1] neg_hi:[0,1]
	v_pk_add_f32 v[18:19], v[14:15], v[16:17] op_sel:[0,1] op_sel_hi:[1,0]
	v_pk_add_f32 v[14:15], v[14:15], v[16:17] op_sel:[0,1] op_sel_hi:[1,0] neg_lo:[0,1] neg_hi:[0,1]
	v_pk_mul_f32 v[16:17], v[202:203], s[8:9] op_sel_hi:[1,0]
	v_pk_mul_f32 v[42:43], v[204:205], s[8:9] op_sel_hi:[1,0]
	v_pk_add_f32 v[14:15], v[14:15], v[16:17] op_sel:[0,1] op_sel_hi:[1,0] neg_lo:[0,1] neg_hi:[0,1]
	v_pk_add_f32 v[16:17], v[18:19], v[16:17] op_sel:[0,1] op_sel_hi:[1,0]
	v_pk_add_f32 v[18:19], v[232:233], v[246:247] neg_lo:[0,1] neg_hi:[0,1]
	v_mov_b32_e32 v92, v98
	v_pk_add_f32 v[18:19], v[18:19], v[36:37]
	v_pk_mul_f32 v[36:37], v[90:91], s[6:7] op_sel_hi:[1,0]
	v_pk_fma_f32 v[92:93], v[88:89], s[2:3], v[92:93] op_sel_hi:[1,0,1]
	v_pk_add_f32 v[38:39], v[200:201], v[36:37] op_sel:[0,1] op_sel_hi:[1,0]
	v_pk_add_f32 v[36:37], v[200:201], v[36:37] op_sel:[0,1] op_sel_hi:[1,0] neg_lo:[0,1] neg_hi:[0,1]
	v_pk_add_f32 v[38:39], v[38:39], v[42:43] op_sel:[0,1] op_sel_hi:[1,0]
	v_pk_add_f32 v[36:37], v[36:37], v[42:43] op_sel:[0,1] op_sel_hi:[1,0] neg_lo:[0,1] neg_hi:[0,1]
	v_mov_b32_e32 v43, v15
	v_mov_b32_e32 v15, v17
	;; [unrolled: 1-line block ×4, first 2 shown]
	v_pk_fma_f32 v[14:15], v[0:1], s[2:3], v[14:15] op_sel_hi:[1,0,1]
	v_pk_fma_f32 v[36:37], v[18:19], s[2:3], v[36:37] op_sel_hi:[1,0,1]
	v_mov_b32_e32 v42, v16
	v_mov_b32_e32 v16, v38
	ds_write2_b64 v103, v[14:15], v[36:37] offset0:56 offset1:181
	v_pk_fma_f32 v[0:1], v[0:1], s[2:3], v[42:43] op_sel_hi:[1,0,1]
	v_pk_fma_f32 v[14:15], v[18:19], s[2:3], v[16:17] op_sel_hi:[1,0,1]
	ds_write2_b64 v47, v[94:95], v[92:93] offset0:92 offset1:217
	ds_write2_b64 v55, v[0:1], v[14:15] offset0:110 offset1:235
	v_pk_add_f32 v[0:1], v[244:245], v[214:215] neg_lo:[0,1] neg_hi:[0,1]
	v_pk_add_f32 v[14:15], v[208:209], v[210:211] neg_lo:[0,1] neg_hi:[0,1]
	;; [unrolled: 1-line block ×3, first 2 shown]
	v_pk_add_f32 v[0:1], v[0:1], v[14:15]
	v_pk_add_f32 v[14:15], v[214:215], v[210:211]
	v_pk_mul_f32 v[18:19], v[16:17], s[6:7] op_sel_hi:[1,0]
	v_pk_fma_f32 v[14:15], v[14:15], 0.5, v[196:197] op_sel_hi:[1,0,1] neg_lo:[1,0,0] neg_hi:[1,0,0]
	v_pk_mul_f32 v[16:17], v[16:17], s[8:9] op_sel_hi:[1,0]
	v_pk_add_f32 v[22:23], v[14:15], v[18:19] op_sel:[0,1] op_sel_hi:[1,0]
	v_pk_add_f32 v[14:15], v[14:15], v[18:19] op_sel:[0,1] op_sel_hi:[1,0] neg_lo:[0,1] neg_hi:[0,1]
	v_pk_add_f32 v[18:19], v[214:215], v[210:211] neg_lo:[0,1] neg_hi:[0,1]
	v_pk_add_f32 v[2:3], v[2:3], v[222:223]
	v_pk_mul_f32 v[24:25], v[18:19], s[8:9] op_sel_hi:[1,0]
	v_pk_mul_f32 v[18:19], v[18:19], s[6:7] op_sel_hi:[1,0]
	v_pk_add_f32 v[14:15], v[14:15], v[24:25] op_sel:[0,1] op_sel_hi:[1,0] neg_lo:[0,1] neg_hi:[0,1]
	v_pk_add_f32 v[22:23], v[22:23], v[24:25] op_sel:[0,1] op_sel_hi:[1,0]
	v_mov_b32_e32 v25, v15
	v_mov_b32_e32 v24, v22
	;; [unrolled: 1-line block ×3, first 2 shown]
	v_pk_fma_f32 v[24:25], v[0:1], s[2:3], v[24:25] op_sel_hi:[1,0,1]
	v_pk_fma_f32 v[0:1], v[0:1], s[2:3], v[14:15] op_sel_hi:[1,0,1]
	ds_write_b64 v96, v[24:25] offset:8000
	v_pk_add_f32 v[24:25], v[196:197], v[244:245]
	v_pk_add_f32 v[32:33], v[28:29], v[18:19] op_sel:[0,1] op_sel_hi:[1,0] neg_lo:[0,1] neg_hi:[0,1]
	v_pk_add_f32 v[18:19], v[28:29], v[18:19] op_sel:[0,1] op_sel_hi:[1,0]
	ds_write_b64 v96, v[0:1] offset:26000
	v_pk_add_f32 v[0:1], v[198:199], v[242:243]
	v_pk_add_f32 v[24:25], v[24:25], v[214:215]
	v_pk_add_f32 v[18:19], v[18:19], v[16:17] op_sel:[0,1] op_sel_hi:[1,0] neg_lo:[0,1] neg_hi:[0,1]
	v_pk_add_f32 v[16:17], v[32:33], v[16:17] op_sel:[0,1] op_sel_hi:[1,0]
	v_pk_add_f32 v[0:1], v[0:1], v[230:231]
	v_pk_add_f32 v[24:25], v[24:25], v[210:211]
	v_mov_b32_e32 v28, v16
	v_mov_b32_e32 v29, v19
	;; [unrolled: 1-line block ×3, first 2 shown]
	v_pk_add_f32 v[0:1], v[0:1], v[240:241]
	v_pk_add_f32 v[24:25], v[24:25], v[208:209]
	v_pk_fma_f32 v[28:29], v[26:27], s[2:3], v[28:29] op_sel_hi:[1,0,1]
	v_pk_fma_f32 v[16:17], v[26:27], s[2:3], v[18:19] op_sel_hi:[1,0,1]
	v_pk_add_f32 v[0:1], v[0:1], v[252:253]
	ds_write_b64 v96, v[28:29] offset:14000
	ds_write_b64 v96, v[16:17] offset:20000
	ds_write2_b64 v34, v[24:25], v[0:1] offset0:122 offset1:247
	v_pk_add_f32 v[0:1], v[230:231], v[240:241]
	v_pk_add_f32 v[14:15], v[242:243], v[252:253]
	v_pk_fma_f32 v[0:1], v[0:1], 0.5, v[198:199] op_sel_hi:[1,0,1] neg_lo:[1,0,0] neg_hi:[1,0,0]
	v_pk_fma_f32 v[14:15], v[14:15], 0.5, v[198:199] op_sel_hi:[1,0,1] neg_lo:[1,0,0] neg_hi:[1,0,0]
	v_pk_add_f32 v[16:17], v[0:1], v[12:13] op_sel:[0,1] op_sel_hi:[1,0]
	v_pk_add_f32 v[0:1], v[0:1], v[12:13] op_sel:[0,1] op_sel_hi:[1,0] neg_lo:[0,1] neg_hi:[0,1]
	v_pk_add_f32 v[12:13], v[230:231], v[240:241] neg_lo:[0,1] neg_hi:[0,1]
	v_pk_add_f32 v[2:3], v[2:3], v[216:217]
	v_pk_mul_f32 v[18:19], v[12:13], s[8:9] op_sel_hi:[1,0]
	v_pk_mul_f32 v[12:13], v[12:13], s[6:7] op_sel_hi:[1,0]
	v_pk_add_f32 v[0:1], v[0:1], v[18:19] op_sel:[0,1] op_sel_hi:[1,0] neg_lo:[0,1] neg_hi:[0,1]
	v_pk_add_f32 v[16:17], v[16:17], v[18:19] op_sel:[0,1] op_sel_hi:[1,0]
	v_pk_add_f32 v[18:19], v[230:231], v[242:243] neg_lo:[0,1] neg_hi:[0,1]
	v_pk_add_f32 v[10:11], v[250:251], v[236:237] neg_lo:[0,1] neg_hi:[0,1]
	v_pk_add_f32 v[18:19], v[18:19], v[20:21]
	v_pk_add_f32 v[20:21], v[14:15], v[12:13] op_sel:[0,1] op_sel_hi:[1,0] neg_lo:[0,1] neg_hi:[0,1]
	v_pk_add_f32 v[12:13], v[14:15], v[12:13] op_sel:[0,1] op_sel_hi:[1,0]
	v_pk_add_f32 v[8:9], v[218:219], v[238:239]
	v_pk_add_f32 v[12:13], v[12:13], v[6:7] op_sel:[0,1] op_sel_hi:[1,0] neg_lo:[0,1] neg_hi:[0,1]
	v_pk_add_f32 v[6:7], v[20:21], v[6:7] op_sel:[0,1] op_sel_hi:[1,0]
	v_mov_b32_e32 v15, v13
	v_mov_b32_e32 v13, v7
	;; [unrolled: 1-line block ×3, first 2 shown]
	v_pk_fma_f32 v[6:7], v[18:19], s[2:3], v[12:13] op_sel_hi:[1,0,1]
	ds_write_b64 v96, v[6:7] offset:21000
	v_mov_b32_e32 v7, v1
	v_mov_b32_e32 v1, v17
	;; [unrolled: 1-line block ×3, first 2 shown]
	v_pk_fma_f32 v[0:1], v[4:5], s[2:3], v[0:1] op_sel_hi:[1,0,1]
	v_pk_fma_f32 v[14:15], v[18:19], s[2:3], v[14:15] op_sel_hi:[1,0,1]
	;; [unrolled: 1-line block ×3, first 2 shown]
	ds_write_b64 v96, v[0:1] offset:27000
	v_pk_add_f32 v[0:1], v[236:237], v[250:251] neg_lo:[0,1] neg_hi:[0,1]
	v_pk_add_f32 v[4:5], v[216:217], v[222:223] neg_lo:[0,1] neg_hi:[0,1]
	ds_write_b64 v96, v[14:15] offset:15000
	v_pk_add_f32 v[0:1], v[0:1], v[4:5]
	v_pk_add_f32 v[4:5], v[250:251], v[222:223]
	v_pk_add_f32 v[14:15], v[236:237], v[216:217] neg_lo:[0,1] neg_hi:[0,1]
	v_pk_fma_f32 v[4:5], v[4:5], 0.5, v[192:193] op_sel_hi:[1,0,1] neg_lo:[1,0,0] neg_hi:[1,0,0]
	v_pk_mul_f32 v[12:13], v[14:15], s[6:7] op_sel_hi:[1,0]
	v_pk_add_f32 v[18:19], v[250:251], v[222:223] neg_lo:[0,1] neg_hi:[0,1]
	v_pk_add_f32 v[16:17], v[4:5], v[12:13] op_sel:[0,1] op_sel_hi:[1,0]
	v_pk_add_f32 v[4:5], v[4:5], v[12:13] op_sel:[0,1] op_sel_hi:[1,0] neg_lo:[0,1] neg_hi:[0,1]
	v_pk_mul_f32 v[12:13], v[18:19], s[8:9] op_sel_hi:[1,0]
	v_pk_mul_f32 v[14:15], v[14:15], s[8:9] op_sel_hi:[1,0]
	v_pk_add_f32 v[4:5], v[4:5], v[12:13] op_sel:[0,1] op_sel_hi:[1,0] neg_lo:[0,1] neg_hi:[0,1]
	v_pk_add_f32 v[12:13], v[16:17], v[12:13] op_sel:[0,1] op_sel_hi:[1,0]
	v_mov_b32_e32 v17, v5
	v_mov_b32_e32 v16, v12
	v_pk_fma_f32 v[16:17], v[0:1], s[2:3], v[16:17] op_sel_hi:[1,0,1]
	v_add_u32_e32 v12, 0x2000, v96
	ds_write2_b64 v12, v[6:7], v[16:17] offset0:101 offset1:226
	v_pk_add_f32 v[6:7], v[194:195], v[218:219]
	v_pk_add_f32 v[16:17], v[222:223], v[216:217] neg_lo:[0,1] neg_hi:[0,1]
	v_pk_add_f32 v[6:7], v[6:7], v[228:229]
	v_pk_add_f32 v[10:11], v[10:11], v[16:17]
	;; [unrolled: 1-line block ×3, first 2 shown]
	v_pk_mul_f32 v[16:17], v[18:19], s[6:7] op_sel_hi:[1,0]
	v_pk_add_f32 v[6:7], v[6:7], v[238:239]
	ds_write2_b64 v59, v[2:3], v[6:7] offset0:116 offset1:241
	v_pk_add_f32 v[2:3], v[236:237], v[216:217]
	v_pk_fma_f32 v[8:9], v[8:9], 0.5, v[194:195] op_sel_hi:[1,0,1] neg_lo:[1,0,0] neg_hi:[1,0,0]
	v_pk_fma_f32 v[2:3], v[2:3], 0.5, v[192:193] op_sel_hi:[1,0,1] neg_lo:[1,0,0] neg_hi:[1,0,0]
	v_mov_b32_e32 v5, v13
	v_pk_add_f32 v[18:19], v[2:3], v[16:17] op_sel:[0,1] op_sel_hi:[1,0] neg_lo:[0,1] neg_hi:[0,1]
	v_pk_add_f32 v[2:3], v[2:3], v[16:17] op_sel:[0,1] op_sel_hi:[1,0]
	v_pk_add_f32 v[16:17], v[228:229], v[218:219] neg_lo:[0,1] neg_hi:[0,1]
	v_pk_add_f32 v[2:3], v[2:3], v[14:15] op_sel:[0,1] op_sel_hi:[1,0] neg_lo:[0,1] neg_hi:[0,1]
	v_pk_add_f32 v[14:15], v[18:19], v[14:15] op_sel:[0,1] op_sel_hi:[1,0]
	v_pk_add_f32 v[18:19], v[234:235], v[238:239] neg_lo:[0,1] neg_hi:[0,1]
	v_pk_add_f32 v[6:7], v[228:229], v[234:235]
	v_pk_add_f32 v[16:17], v[16:17], v[18:19]
	v_pk_add_f32 v[18:19], v[228:229], v[234:235] neg_lo:[0,1] neg_hi:[0,1]
	v_pk_fma_f32 v[0:1], v[0:1], s[2:3], v[4:5] op_sel_hi:[1,0,1]
	v_pk_mul_f32 v[20:21], v[18:19], s[6:7] op_sel_hi:[1,0]
	v_pk_add_f32 v[4:5], v[238:239], v[234:235] neg_lo:[0,1] neg_hi:[0,1]
	v_pk_add_f32 v[22:23], v[8:9], v[20:21] op_sel:[0,1] op_sel_hi:[1,0] neg_lo:[0,1] neg_hi:[0,1]
	v_pk_add_f32 v[8:9], v[8:9], v[20:21] op_sel:[0,1] op_sel_hi:[1,0]
	v_pk_add_f32 v[20:21], v[218:219], v[238:239] neg_lo:[0,1] neg_hi:[0,1]
	v_pk_fma_f32 v[6:7], v[6:7], 0.5, v[194:195] op_sel_hi:[1,0,1] neg_lo:[1,0,0] neg_hi:[1,0,0]
	v_pk_mul_f32 v[24:25], v[20:21], s[8:9] op_sel_hi:[1,0]
	v_mov_b32_e32 v254, v34
	v_pk_add_f32 v[8:9], v[8:9], v[24:25] op_sel:[0,1] op_sel_hi:[1,0] neg_lo:[0,1] neg_hi:[0,1]
	v_pk_add_f32 v[22:23], v[22:23], v[24:25] op_sel:[0,1] op_sel_hi:[1,0]
	v_mov_b32_e32 v25, v3
	v_mov_b32_e32 v27, v9
	;; [unrolled: 1-line block ×4, first 2 shown]
	v_pk_fma_f32 v[2:3], v[10:11], s[2:3], v[2:3] op_sel_hi:[1,0,1]
	v_pk_fma_f32 v[8:9], v[16:17], s[2:3], v[8:9] op_sel_hi:[1,0,1]
	ds_write2_b64 v155, v[2:3], v[8:9] offset0:62 offset1:187
	v_pk_add_f32 v[2:3], v[218:219], v[228:229] neg_lo:[0,1] neg_hi:[0,1]
	v_mov_b32_e32 v24, v14
	v_pk_add_f32 v[2:3], v[2:3], v[4:5]
	v_pk_mul_f32 v[4:5], v[20:21], s[6:7] op_sel_hi:[1,0]
	v_mov_b32_e32 v26, v22
	v_pk_add_f32 v[8:9], v[6:7], v[4:5] op_sel:[0,1] op_sel_hi:[1,0]
	v_pk_add_f32 v[4:5], v[6:7], v[4:5] op_sel:[0,1] op_sel_hi:[1,0] neg_lo:[0,1] neg_hi:[0,1]
	v_pk_mul_f32 v[6:7], v[18:19], s[8:9] op_sel_hi:[1,0]
	v_pk_fma_f32 v[24:25], v[10:11], s[2:3], v[24:25] op_sel_hi:[1,0,1]
	v_pk_add_f32 v[4:5], v[4:5], v[6:7] op_sel:[0,1] op_sel_hi:[1,0] neg_lo:[0,1] neg_hi:[0,1]
	v_pk_add_f32 v[6:7], v[8:9], v[6:7] op_sel:[0,1] op_sel_hi:[1,0]
	v_mov_b32_e32 v9, v5
	v_mov_b32_e32 v5, v7
	v_pk_fma_f32 v[4:5], v[2:3], s[2:3], v[4:5] op_sel_hi:[1,0,1]
	v_mov_b32_e32 v8, v6
	ds_write2_b64 v135, v[0:1], v[4:5] offset0:44 offset1:169
	v_pk_fma_f32 v[0:1], v[2:3], s[2:3], v[8:9] op_sel_hi:[1,0,1]
	ds_write_b64 v96, v[0:1] offset:11000
	v_accvgpr_read_b32 v0, a152
	v_pk_fma_f32 v[26:27], v[16:17], s[2:3], v[26:27] op_sel_hi:[1,0,1]
	v_accvgpr_read_b32 v1, a153
	ds_write2_b64 v83, v[24:25], v[26:27] offset0:80 offset1:205
	s_waitcnt lgkmcnt(0)
	s_barrier
	global_load_dwordx2 v[4:5], v[0:1], off offset:1328
	v_lshl_add_u64 v[8:9], v[40:41], 0, s[10:11]
	global_load_dwordx2 v[6:7], v[8:9], off offset:1000
	global_load_dwordx2 v[14:15], v[8:9], off offset:2000
	;; [unrolled: 1-line block ×3, first 2 shown]
	ds_read2_b64 v[0:3], v96 offset1:125
	s_mov_b32 s3, 0x9000
	v_add_co_u32_e32 v18, vcc, s3, v40
	s_mov_b32 s3, 0xc000
	s_nop 0
	v_addc_co_u32_e32 v19, vcc, 0, v41, vcc
	v_add_co_u32_e32 v20, vcc, s3, v40
	s_mov_b32 s3, 0xa000
	s_nop 0
	v_addc_co_u32_e32 v21, vcc, 0, v41, vcc
	v_mov_b32_e32 v47, v135
	v_mov_b32_e32 v135, v206
	v_accvgpr_read_b32 v240, a104
	v_accvgpr_read_b32 v239, a103
	;; [unrolled: 1-line block ×3, first 2 shown]
	v_accvgpr_write_b32 a188, v111
	v_mov_b32_e32 v111, v87
	v_accvgpr_write_b32 a186, v127
	v_mov_b32_e32 v127, v83
	v_mov_b32_e32 v183, v51
	;; [unrolled: 1-line block ×3, first 2 shown]
	s_mov_b32 s10, 0xbe9e377a
	s_mov_b32 s11, s6
	s_waitcnt vmcnt(3) lgkmcnt(0)
	v_mul_f32_e32 v10, v1, v5
	v_mul_f32_e32 v11, v0, v5
	v_fma_f32 v10, v0, v4, -v10
	v_fmac_f32_e32 v11, v1, v4
	ds_write_b64 v96, v[10:11]
	global_load_dwordx2 v[4:5], v[18:19], off offset:3136
	global_load_dwordx2 v[22:23], v[20:21], off offset:848
	;; [unrolled: 1-line block ×4, first 2 shown]
	s_waitcnt vmcnt(6)
	v_mul_f32_e32 v0, v3, v7
	v_mul_f32_e32 v193, v2, v7
	v_fma_f32 v192, v2, v6, -v0
	v_fmac_f32_e32 v193, v3, v6
	ds_read2_b64 v[0:3], v71 offset0:98 offset1:223
	s_waitcnt vmcnt(3) lgkmcnt(0)
	v_mul_f32_e32 v6, v1, v5
	v_fma_f32 v194, v0, v4, -v6
	v_add_co_u32_e32 v6, vcc, s3, v40
	v_mul_f32_e32 v195, v0, v5
	s_nop 0
	v_addc_co_u32_e32 v7, vcc, 0, v41, vcc
	v_fmac_f32_e32 v195, v1, v4
	global_load_dwordx2 v[28:29], v[6:7], off offset:2040
	global_load_dwordx2 v[0:1], v[6:7], off offset:40
	s_mov_b32 s3, 0xd000
	s_waitcnt vmcnt(0)
	v_mul_f32_e32 v4, v3, v1
	v_mul_f32_e32 v11, v2, v1
	v_fma_f32 v10, v2, v0, -v4
	v_fmac_f32_e32 v11, v3, v0
	ds_read2_b64 v[2:5], v51 offset0:68 offset1:193
	s_waitcnt lgkmcnt(0)
	v_mul_f32_e32 v0, v3, v23
	v_fma_f32 v0, v2, v22, -v0
	v_mul_f32_e32 v1, v2, v23
	v_mul_f32_e32 v2, v5, v25
	v_mul_f32_e32 v199, v4, v25
	v_fmac_f32_e32 v1, v3, v22
	v_fma_f32 v198, v4, v24, -v2
	v_fmac_f32_e32 v199, v5, v24
	ds_read2_b64 v[2:5], v34 offset0:122 offset1:247
	s_waitcnt lgkmcnt(0)
	v_mul_f32_e32 v13, v3, v15
	v_mul_f32_e32 v197, v2, v15
	v_fma_f32 v196, v2, v14, -v13
	v_fmac_f32_e32 v197, v3, v14
	global_load_dwordx2 v[14:15], v[6:7], off offset:1040
	v_mul_f32_e32 v2, v5, v17
	v_mul_f32_e32 v219, v4, v17
	v_fma_f32 v218, v4, v16, -v2
	v_fmac_f32_e32 v219, v5, v16
	ds_read2_b64 v[2:5], v167 offset0:92 offset1:217
	s_waitcnt lgkmcnt(0)
	v_mul_f32_e32 v231, v4, v29
	v_fmac_f32_e32 v231, v5, v28
	s_waitcnt vmcnt(0)
	v_mul_f32_e32 v13, v3, v15
	v_fma_f32 v228, v2, v14, -v13
	v_mul_f32_e32 v229, v2, v15
	v_mul_f32_e32 v2, v5, v29
	v_fmac_f32_e32 v229, v3, v14
	v_fma_f32 v230, v4, v28, -v2
	ds_read2_b64 v[2:5], v155 offset0:62 offset1:187
	s_waitcnt lgkmcnt(0)
	v_mul_f32_e32 v13, v3, v27
	v_mul_f32_e32 v233, v2, v27
	v_fma_f32 v232, v2, v26, -v13
	v_fmac_f32_e32 v233, v3, v26
	global_load_dwordx2 v[2:3], v[20:21], off offset:3848
	s_waitcnt vmcnt(0)
	v_mul_f32_e32 v13, v5, v3
	v_mul_f32_e32 v223, v4, v3
	v_fma_f32 v222, v4, v2, -v13
	v_fmac_f32_e32 v223, v5, v2
	global_load_dwordx2 v[8:9], v[8:9], off offset:4000
	s_nop 0
	global_load_dwordx2 v[20:21], v[18:19], off offset:136
	global_load_dwordx2 v[4:5], v[18:19], off offset:1136
	;; [unrolled: 1-line block ×3, first 2 shown]
	ds_read2_b64 v[14:17], v59 offset0:116 offset1:241
	s_waitcnt vmcnt(3) lgkmcnt(0)
	v_mul_f32_e32 v13, v15, v9
	v_fma_f32 v18, v14, v8, -v13
	v_mul_f32_e32 v19, v14, v9
	v_add_co_u32_e32 v14, vcc, s3, v40
	v_fmac_f32_e32 v19, v15, v8
	s_nop 0
	v_addc_co_u32_e32 v15, vcc, 0, v41, vcc
	s_mov_b32 s3, 0x8000
	v_add_co_u32_e32 v8, vcc, s3, v40
	s_mov_b32 s3, 0xb000
	s_nop 0
	v_addc_co_u32_e32 v9, vcc, 0, v41, vcc
	global_load_dwordx2 v[22:23], v[8:9], off offset:2232
	global_load_dwordx2 v[24:25], v[8:9], off offset:3232
	;; [unrolled: 1-line block ×3, first 2 shown]
	s_waitcnt vmcnt(2)
	v_mul_f32_e32 v8, v17, v23
	v_mul_f32_e32 v29, v16, v23
	v_fma_f32 v28, v16, v22, -v8
	v_fmac_f32_e32 v29, v17, v22
	global_load_dwordx2 v[16:17], v[6:7], off offset:3040
	global_load_dwordx2 v[22:23], v[6:7], off offset:4040
	;; [unrolled: 1-line block ×3, first 2 shown]
	ds_read2_b64 v[6:9], v206 offset0:86 offset1:211
	s_waitcnt vmcnt(2) lgkmcnt(0)
	v_mul_f32_e32 v13, v7, v17
	v_fma_f32 v32, v6, v16, -v13
	v_mul_f32_e32 v33, v6, v17
	s_waitcnt vmcnt(1)
	v_mul_f32_e32 v6, v9, v23
	v_mul_f32_e32 v17, v8, v23
	v_fmac_f32_e32 v33, v7, v16
	v_fma_f32 v16, v8, v22, -v6
	v_fmac_f32_e32 v17, v9, v22
	ds_read2_b64 v[6:9], v103 offset0:56 offset1:181
	s_waitcnt vmcnt(0) lgkmcnt(0)
	v_mul_f32_e32 v13, v7, v31
	v_mul_f32_e32 v23, v6, v31
	v_fma_f32 v22, v6, v30, -v13
	v_fmac_f32_e32 v23, v7, v30
	global_load_dwordx2 v[6:7], v[14:15], off offset:1752
	s_waitcnt vmcnt(0)
	v_mul_f32_e32 v13, v9, v7
	v_mul_f32_e32 v31, v8, v7
	v_fma_f32 v30, v8, v6, -v13
	v_fmac_f32_e32 v31, v9, v6
	ds_read2_b64 v[6:9], v55 offset0:110 offset1:235
	s_waitcnt lgkmcnt(0)
	v_mul_f32_e32 v13, v7, v25
	v_fma_f32 v34, v6, v24, -v13
	v_mul_f32_e32 v35, v6, v25
	v_mul_f32_e32 v6, v9, v21
	v_fmac_f32_e32 v35, v7, v24
	v_fma_f32 v24, v8, v20, -v6
	v_add_co_u32_e32 v6, vcc, s3, v40
	v_mul_f32_e32 v25, v8, v21
	s_nop 0
	v_addc_co_u32_e32 v7, vcc, 0, v41, vcc
	v_fmac_f32_e32 v25, v9, v20
	global_load_dwordx2 v[20:21], v[6:7], off offset:944
	global_load_dwordx2 v[36:37], v[6:7], off offset:1944
	;; [unrolled: 1-line block ×4, first 2 shown]
	ds_read2_b64 v[6:9], v83 offset0:80 offset1:205
	global_load_dwordx2 v[14:15], v[14:15], off offset:2752
	s_mov_b32 s3, 0xe000
	s_waitcnt vmcnt(4) lgkmcnt(0)
	v_mul_f32_e32 v13, v7, v21
	v_fma_f32 v88, v6, v20, -v13
	v_mul_f32_e32 v89, v6, v21
	s_waitcnt vmcnt(3)
	v_mul_f32_e32 v6, v9, v37
	v_mul_f32_e32 v21, v8, v37
	v_fmac_f32_e32 v89, v7, v20
	v_fma_f32 v20, v8, v36, -v6
	v_fmac_f32_e32 v21, v9, v36
	ds_read2_b64 v[6:9], v123 offset0:50 offset1:175
	s_waitcnt vmcnt(0) lgkmcnt(0)
	v_mul_f32_e32 v13, v7, v15
	v_fma_f32 v36, v6, v14, -v13
	v_mul_f32_e32 v37, v6, v15
	v_mul_f32_e32 v6, v9, v27
	;; [unrolled: 1-line block ×3, first 2 shown]
	v_fmac_f32_e32 v37, v7, v14
	v_fma_f32 v14, v8, v26, -v6
	v_fmac_f32_e32 v15, v9, v26
	ds_read2_b64 v[6:9], v115 offset0:104 offset1:229
	v_mov_b32_e32 v115, v47
	s_waitcnt lgkmcnt(0)
	v_mul_f32_e32 v13, v7, v5
	v_mul_f32_e32 v27, v6, v5
	v_fma_f32 v26, v6, v4, -v13
	v_fmac_f32_e32 v27, v7, v4
	v_mul_f32_e32 v4, v9, v3
	v_mul_f32_e32 v7, v8, v3
	v_fma_f32 v6, v8, v2, -v4
	v_fmac_f32_e32 v7, v9, v2
	ds_read2_b64 v[2:5], v87 offset0:74 offset1:199
	s_waitcnt lgkmcnt(0)
	v_mul_f32_e32 v8, v3, v39
	v_fma_f32 v8, v2, v38, -v8
	v_mul_f32_e32 v9, v2, v39
	v_mul_f32_e32 v2, v5, v43
	v_fmac_f32_e32 v9, v3, v38
	v_fma_f32 v38, v4, v42, -v2
	v_add_co_u32_e32 v2, vcc, s3, v40
	v_mul_f32_e32 v39, v4, v43
	s_nop 0
	v_addc_co_u32_e32 v3, vcc, 0, v41, vcc
	v_fmac_f32_e32 v39, v5, v42
	global_load_dwordx2 v[40:41], v[2:3], off offset:656
	global_load_dwordx2 v[42:43], v[2:3], off offset:1656
	ds_read2_b64 v[2:5], v47 offset0:44 offset1:169
	s_waitcnt vmcnt(1) lgkmcnt(0)
	v_mul_f32_e32 v13, v3, v41
	v_fma_f32 v90, v2, v40, -v13
	v_mul_f32_e32 v91, v2, v41
	s_waitcnt vmcnt(0)
	v_mul_f32_e32 v2, v5, v43
	v_fmac_f32_e32 v91, v3, v40
	v_fma_f32 v2, v4, v42, -v2
	v_mul_f32_e32 v3, v4, v43
	v_accvgpr_read_b32 v4, a3
	ds_write2_b64 v4, v[10:11], v[228:229] offset0:95 offset1:220
	v_accvgpr_read_b32 v4, a64
	ds_write2_b64 v4, v[198:199], v[232:233] offset0:65 offset1:190
	v_add_u32_e32 v4, 0x800, v96
	ds_write2_b64 v4, v[218:219], v[18:19] offset0:119 offset1:244
	v_accvgpr_read_b32 v4, a65
	ds_write2_b64 v4, v[230:231], v[32:33] offset0:89 offset1:214
	v_accvgpr_read_b32 v4, a66
	ds_write2_b64 v4, v[222:223], v[22:23] offset0:59 offset1:184
	v_add_u32_e32 v4, 0x1000, v96
	ds_write2_b64 v4, v[28:29], v[34:35] offset0:113 offset1:238
	;; [unrolled: 6-line block ×3, first 2 shown]
	v_accvgpr_read_b32 v4, a72
	ds_write2_b64 v4, v[20:21], v[8:9] offset0:77 offset1:202
	v_accvgpr_read_b32 v4, a73
	v_fmac_f32_e32 v3, v5, v42
	ds_write2_b64 v4, v[14:15], v[90:91] offset0:47 offset1:172
	ds_write2_b64 v12, v[6:7], v[194:195] offset0:101 offset1:226
	v_add_u32_e32 v4, 0x4800, v96
	ds_write2_b64 v4, v[38:39], v[0:1] offset0:71 offset1:196
	ds_write2_b64 v96, v[192:193], v[196:197] offset0:125 offset1:250
	ds_write_b64 v96, v[2:3] offset:29000
	s_waitcnt lgkmcnt(0)
	s_barrier
	ds_read2_b64 v[0:3], v254 offset0:122 offset1:247
	ds_read2_b64 v[4:7], v167 offset0:92 offset1:217
	;; [unrolled: 1-line block ×3, first 2 shown]
	v_accvgpr_read_b32 v234, a100
	v_accvgpr_read_b32 v233, a99
	;; [unrolled: 1-line block ×3, first 2 shown]
	s_waitcnt lgkmcnt(1)
	v_pk_add_f32 v[12:13], v[0:1], v[4:5]
	s_waitcnt lgkmcnt(0)
	v_pk_add_f32 v[14:15], v[4:5], v[8:9]
	v_pk_add_f32 v[16:17], v[4:5], v[8:9] neg_lo:[0,1] neg_hi:[0,1]
	v_pk_add_f32 v[4:5], v[2:3], v[6:7]
	v_pk_add_f32 v[18:19], v[6:7], v[10:11]
	v_pk_add_f32 v[20:21], v[6:7], v[10:11] neg_lo:[0,1] neg_hi:[0,1]
	v_pk_add_f32 v[22:23], v[12:13], v[8:9]
	v_pk_add_f32 v[24:25], v[4:5], v[10:11]
	v_pk_fma_f32 v[26:27], v[14:15], 0.5, v[0:1] op_sel_hi:[1,0,1] neg_lo:[1,0,0] neg_hi:[1,0,0]
	v_pk_fma_f32 v[18:19], v[18:19], 0.5, v[2:3] op_sel_hi:[1,0,1] neg_lo:[1,0,0] neg_hi:[1,0,0]
	ds_read2_b64 v[0:3], v59 offset0:116 offset1:241
	ds_read2_b64 v[4:7], v206 offset0:86 offset1:211
	;; [unrolled: 1-line block ×3, first 2 shown]
	v_mov_b32_e32 v103, v55
	s_waitcnt lgkmcnt(1)
	v_pk_add_f32 v[12:13], v[0:1], v[4:5]
	s_waitcnt lgkmcnt(0)
	v_pk_add_f32 v[14:15], v[4:5], v[8:9]
	v_pk_add_f32 v[28:29], v[4:5], v[8:9] neg_lo:[0,1] neg_hi:[0,1]
	v_pk_add_f32 v[4:5], v[2:3], v[6:7]
	v_pk_add_f32 v[30:31], v[6:7], v[10:11]
	v_pk_add_f32 v[32:33], v[6:7], v[10:11] neg_lo:[0,1] neg_hi:[0,1]
	v_pk_add_f32 v[34:35], v[12:13], v[8:9]
	v_pk_add_f32 v[36:37], v[4:5], v[10:11]
	v_pk_fma_f32 v[38:39], v[14:15], 0.5, v[0:1] op_sel_hi:[1,0,1] neg_lo:[1,0,0] neg_hi:[1,0,0]
	v_pk_fma_f32 v[30:31], v[30:31], 0.5, v[2:3] op_sel_hi:[1,0,1] neg_lo:[1,0,0] neg_hi:[1,0,0]
	ds_read2_b64 v[0:3], v55 offset0:110 offset1:235
	ds_read2_b64 v[4:7], v83 offset0:80 offset1:205
	;; [unrolled: 1-line block ×3, first 2 shown]
	s_waitcnt lgkmcnt(1)
	v_pk_add_f32 v[12:13], v[0:1], v[4:5]
	s_waitcnt lgkmcnt(0)
	v_pk_add_f32 v[14:15], v[4:5], v[8:9]
	v_pk_add_f32 v[40:41], v[4:5], v[8:9] neg_lo:[0,1] neg_hi:[0,1]
	v_pk_add_f32 v[4:5], v[2:3], v[6:7]
	v_pk_add_f32 v[42:43], v[6:7], v[10:11]
	v_pk_add_f32 v[88:89], v[6:7], v[10:11] neg_lo:[0,1] neg_hi:[0,1]
	v_pk_add_f32 v[90:91], v[12:13], v[8:9]
	v_pk_add_f32 v[92:93], v[4:5], v[10:11]
	v_pk_fma_f32 v[94:95], v[14:15], 0.5, v[0:1] op_sel_hi:[1,0,1] neg_lo:[1,0,0] neg_hi:[1,0,0]
	v_pk_fma_f32 v[42:43], v[42:43], 0.5, v[2:3] op_sel_hi:[1,0,1] neg_lo:[1,0,0] neg_hi:[1,0,0]
	ds_read2_b64 v[0:3], v97 offset0:104 offset1:229
	ds_read2_b64 v[4:7], v87 offset0:74 offset1:199
	;; [unrolled: 1-line block ×3, first 2 shown]
	v_accvgpr_read_b32 v47, a1
	s_waitcnt lgkmcnt(1)
	v_pk_add_f32 v[12:13], v[0:1], v[4:5]
	s_waitcnt lgkmcnt(0)
	v_pk_add_f32 v[98:99], v[4:5], v[8:9]
	v_pk_add_f32 v[192:193], v[4:5], v[8:9] neg_lo:[0,1] neg_hi:[0,1]
	v_pk_add_f32 v[4:5], v[2:3], v[6:7]
	v_pk_add_f32 v[194:195], v[6:7], v[10:11]
	v_pk_add_f32 v[196:197], v[6:7], v[10:11] neg_lo:[0,1] neg_hi:[0,1]
	v_pk_add_f32 v[198:199], v[12:13], v[8:9]
	v_pk_add_f32 v[200:201], v[4:5], v[10:11]
	ds_read2_b64 v[4:7], v96 offset1:125
	ds_read2_b64 v[8:11], v71 offset0:98 offset1:223
	ds_read2_b64 v[12:15], v51 offset0:68 offset1:193
	s_waitcnt lgkmcnt(0)
	s_barrier
	v_pk_add_f32 v[206:207], v[4:5], v[8:9]
	v_pk_add_f32 v[208:209], v[8:9], v[12:13]
	v_pk_add_f32 v[8:9], v[8:9], v[12:13] neg_lo:[0,1] neg_hi:[0,1]
	v_pk_add_f32 v[202:203], v[6:7], v[10:11]
	v_pk_fma_f32 v[4:5], v[208:209], 0.5, v[4:5] op_sel_hi:[1,0,1] neg_lo:[1,0,0] neg_hi:[1,0,0]
	v_pk_mul_f32 v[8:9], v[8:9], s[12:13] op_sel_hi:[1,0]
	v_pk_add_f32 v[204:205], v[10:11], v[14:15]
	v_pk_add_f32 v[10:11], v[10:11], v[14:15] neg_lo:[0,1] neg_hi:[0,1]
	v_pk_add_f32 v[14:15], v[202:203], v[14:15]
	v_pk_add_f32 v[202:203], v[4:5], v[8:9] op_sel:[0,1] op_sel_hi:[1,0] neg_lo:[0,1] neg_hi:[0,1]
	v_pk_add_f32 v[4:5], v[4:5], v[8:9] op_sel:[0,1] op_sel_hi:[1,0]
	v_pk_add_f32 v[12:13], v[206:207], v[12:13]
	v_mov_b32_e32 v9, v5
	v_mov_b32_e32 v5, v203
	v_pk_fma_f32 v[6:7], v[204:205], 0.5, v[6:7] op_sel_hi:[1,0,1] neg_lo:[1,0,0] neg_hi:[1,0,0]
	v_mov_b32_e32 v8, v202
	ds_write_b64 v47, v[4:5] offset:16
	v_pk_mul_f32 v[4:5], v[10:11], s[12:13] op_sel_hi:[1,0]
	ds_write2_b64 v47, v[12:13], v[8:9] offset1:1
	v_pk_add_f32 v[8:9], v[6:7], v[4:5] op_sel:[0,1] op_sel_hi:[1,0] neg_lo:[0,1] neg_hi:[0,1]
	v_pk_add_f32 v[4:5], v[6:7], v[4:5] op_sel:[0,1] op_sel_hi:[1,0]
	v_mov_b32_e32 v6, v8
	v_mov_b32_e32 v7, v5
	v_accvgpr_read_b32 v8, a68
	v_mov_b32_e32 v5, v9
	ds_write_b64 v8, v[4:5] offset:16
	v_pk_mul_f32 v[4:5], v[16:17], s[12:13] op_sel_hi:[1,0]
	ds_write2_b64 v8, v[14:15], v[6:7] offset1:1
	v_pk_add_f32 v[6:7], v[26:27], v[4:5] op_sel:[0,1] op_sel_hi:[1,0] neg_lo:[0,1] neg_hi:[0,1]
	v_pk_add_f32 v[4:5], v[26:27], v[4:5] op_sel:[0,1] op_sel_hi:[1,0]
	v_mov_b32_e32 v8, v6
	v_mov_b32_e32 v9, v5
	v_accvgpr_read_b32 v6, a71
	;; [unrolled: 9-line block ×7, first 2 shown]
	v_mov_b32_e32 v5, v7
	ds_write_b64 v6, v[4:5] offset:16
	v_pk_fma_f32 v[0:1], v[98:99], 0.5, v[0:1] op_sel_hi:[1,0,1] neg_lo:[1,0,0] neg_hi:[1,0,0]
	v_pk_mul_f32 v[4:5], v[192:193], s[12:13] op_sel_hi:[1,0]
	ds_write2_b64 v6, v[92:93], v[8:9] offset1:1
	v_pk_add_f32 v[6:7], v[0:1], v[4:5] op_sel:[0,1] op_sel_hi:[1,0] neg_lo:[0,1] neg_hi:[0,1]
	v_pk_add_f32 v[0:1], v[0:1], v[4:5] op_sel:[0,1] op_sel_hi:[1,0]
	v_mov_b32_e32 v4, v6
	v_mov_b32_e32 v5, v1
	v_accvgpr_read_b32 v6, a74
	v_mov_b32_e32 v1, v7
	v_pk_fma_f32 v[2:3], v[194:195], 0.5, v[2:3] op_sel_hi:[1,0,1] neg_lo:[1,0,0] neg_hi:[1,0,0]
	ds_write_b64 v6, v[0:1] offset:16
	v_pk_mul_f32 v[0:1], v[196:197], s[12:13] op_sel_hi:[1,0]
	ds_write2_b64 v6, v[198:199], v[4:5] offset1:1
	v_pk_add_f32 v[4:5], v[2:3], v[0:1] op_sel:[0,1] op_sel_hi:[1,0] neg_lo:[0,1] neg_hi:[0,1]
	v_pk_add_f32 v[0:1], v[2:3], v[0:1] op_sel:[0,1] op_sel_hi:[1,0]
	v_mov_b32_e32 v2, v4
	v_mov_b32_e32 v3, v1
	v_accvgpr_read_b32 v4, a79
	v_mov_b32_e32 v1, v5
	ds_write2_b64 v4, v[200:201], v[2:3] offset1:1
	ds_write_b64 v4, v[0:1] offset:16
	s_waitcnt lgkmcnt(0)
	s_barrier
	ds_read2_b64 v[2:5], v71 offset0:98 offset1:223
	v_accvgpr_read_b32 v8, a146
	v_accvgpr_read_b32 v9, a147
	;; [unrolled: 1-line block ×4, first 2 shown]
	s_waitcnt lgkmcnt(0)
	v_pk_mul_f32 v[6:7], v[8:9], v[4:5] op_sel:[1,0]
	v_accvgpr_read_b32 v19, a131
	v_pk_fma_f32 v[0:1], v[8:9], v[4:5], v[6:7] op_sel:[0,0,1] op_sel_hi:[1,1,0]
	v_pk_fma_f32 v[192:193], v[8:9], v[4:5], v[6:7] op_sel:[0,0,1] op_sel_hi:[0,1,0] neg_lo:[0,0,1] neg_hi:[0,0,1]
	ds_read2_b64 v[4:7], v83 offset0:80 offset1:205
	v_accvgpr_read_b32 v8, a150
	v_accvgpr_read_b32 v20, a132
	;; [unrolled: 1-line block ×4, first 2 shown]
	s_waitcnt lgkmcnt(0)
	v_pk_mul_f32 v[8:9], v[8:9], v[6:7] op_sel_hi:[0,1]
	v_pk_fma_f32 v[12:13], v[10:11], v[6:7], v[8:9] op_sel:[0,0,1] op_sel_hi:[1,1,0]
	v_pk_fma_f32 v[14:15], v[10:11], v[6:7], v[8:9] op_sel:[0,0,1] op_sel_hi:[0,1,0] neg_lo:[0,0,1] neg_hi:[0,0,1]
	v_accvgpr_read_b32 v8, a124
	v_accvgpr_read_b32 v9, a125
	v_pk_mul_f32 v[6:7], v[8:9], v[2:3] op_sel:[1,0]
	v_accvgpr_read_b32 v10, a126
	v_pk_fma_f32 v[194:195], v[8:9], v[2:3], v[6:7] op_sel:[0,0,1] op_sel_hi:[1,1,0]
	v_pk_fma_f32 v[218:219], v[8:9], v[2:3], v[6:7] op_sel:[0,0,1] op_sel_hi:[0,1,0] neg_lo:[0,0,1] neg_hi:[0,0,1]
	v_accvgpr_read_b32 v2, a128
	v_accvgpr_read_b32 v11, a127
	v_pk_mul_f32 v[2:3], v[2:3], v[4:5] op_sel_hi:[0,1]
	v_pk_fma_f32 v[196:197], v[10:11], v[4:5], v[2:3] op_sel:[0,0,1] op_sel_hi:[1,1,0]
	v_pk_fma_f32 v[228:229], v[10:11], v[4:5], v[2:3] op_sel:[0,0,1] op_sel_hi:[0,1,0] neg_lo:[0,0,1] neg_hi:[0,0,1]
	ds_read2_b64 v[2:5], v155 offset0:62 offset1:187
	v_accvgpr_read_b32 v25, a107
	v_accvgpr_read_b32 v26, a108
	ds_read2_b64 v[40:43], v123 offset0:50 offset1:175
	v_accvgpr_read_b32 v34, a92
	s_waitcnt lgkmcnt(1)
	v_pk_mul_f32 v[6:7], v[18:19], v[4:5] op_sel:[1,0]
	v_accvgpr_read_b32 v35, a93
	v_pk_fma_f32 v[8:9], v[18:19], v[4:5], v[6:7] op_sel:[0,0,1] op_sel_hi:[1,1,0]
	v_pk_fma_f32 v[10:11], v[18:19], v[4:5], v[6:7] op_sel:[0,0,1] op_sel_hi:[0,1,0] neg_lo:[0,0,1] neg_hi:[0,0,1]
	ds_read2_b64 v[16:19], v115 offset0:44 offset1:169
	v_accvgpr_read_b32 v4, a134
	v_accvgpr_read_b32 v36, a94
	;; [unrolled: 1-line block ×3, first 2 shown]
	v_mov_b32_e32 v195, v219
	s_waitcnt lgkmcnt(0)
	v_pk_mul_f32 v[6:7], v[4:5], v[18:19] op_sel_hi:[0,1]
	v_pk_fma_f32 v[4:5], v[20:21], v[18:19], v[6:7] op_sel:[0,0,1] op_sel_hi:[1,1,0]
	v_pk_fma_f32 v[6:7], v[20:21], v[18:19], v[6:7] op_sel:[0,0,1] op_sel_hi:[0,1,0] neg_lo:[0,0,1] neg_hi:[0,0,1]
	v_accvgpr_read_b32 v20, a112
	v_accvgpr_read_b32 v21, a113
	v_pk_mul_f32 v[18:19], v[20:21], v[2:3] op_sel:[1,0]
	v_accvgpr_read_b32 v22, a114
	v_pk_fma_f32 v[198:199], v[20:21], v[2:3], v[18:19] op_sel:[0,0,1] op_sel_hi:[1,1,0]
	v_pk_fma_f32 v[202:203], v[20:21], v[2:3], v[18:19] op_sel:[0,0,1] op_sel_hi:[0,1,0] neg_lo:[0,0,1] neg_hi:[0,0,1]
	v_accvgpr_read_b32 v2, a120
	v_pk_mul_f32 v[2:3], v[2:3], v[16:17] op_sel_hi:[0,1]
	v_pk_fma_f32 v[200:201], v[22:23], v[16:17], v[2:3] op_sel:[0,0,1] op_sel_hi:[1,1,0]
	v_pk_fma_f32 v[208:209], v[22:23], v[16:17], v[2:3] op_sel:[0,0,1] op_sel_hi:[0,1,0] neg_lo:[0,0,1] neg_hi:[0,0,1]
	ds_read2_b64 v[20:23], v97 offset0:104 offset1:229
	v_accvgpr_read_b32 v6, a90
	v_mov_b32_e32 v197, v229
	v_mov_b32_e32 v199, v203
	;; [unrolled: 1-line block ×3, first 2 shown]
	s_waitcnt lgkmcnt(0)
	v_pk_mul_f32 v[2:3], v[24:25], v[22:23] op_sel:[1,0]
	v_mov_b32_e32 v13, v15
	v_pk_fma_f32 v[206:207], v[24:25], v[22:23], v[2:3] op_sel:[0,0,1] op_sel_hi:[1,1,0]
	v_pk_fma_f32 v[16:17], v[24:25], v[22:23], v[2:3] op_sel:[0,0,1] op_sel_hi:[0,1,0] neg_lo:[0,0,1] neg_hi:[0,0,1]
	ds_read2_b64 v[22:25], v135 offset0:86 offset1:211
	v_accvgpr_read_b32 v2, a110
	v_mov_b32_e32 v207, v17
	v_mov_b32_e32 v9, v11
	;; [unrolled: 1-line block ×3, first 2 shown]
	s_waitcnt lgkmcnt(0)
	v_pk_mul_f32 v[18:19], v[2:3], v[24:25] op_sel_hi:[0,1]
	v_pk_fma_f32 v[2:3], v[26:27], v[24:25], v[18:19] op_sel:[0,0,1] op_sel_hi:[1,1,0]
	v_pk_fma_f32 v[18:19], v[26:27], v[24:25], v[18:19] op_sel:[0,0,1] op_sel_hi:[0,1,0] neg_lo:[0,0,1] neg_hi:[0,0,1]
	v_accvgpr_read_b32 v26, a86
	v_accvgpr_read_b32 v27, a87
	v_pk_mul_f32 v[24:25], v[26:27], v[20:21] op_sel:[1,0]
	v_accvgpr_read_b32 v28, a88
	v_pk_fma_f32 v[32:33], v[26:27], v[20:21], v[24:25] op_sel:[0,0,1] op_sel_hi:[1,1,0]
	v_pk_fma_f32 v[38:39], v[26:27], v[20:21], v[24:25] op_sel:[0,0,1] op_sel_hi:[0,1,0] neg_lo:[0,0,1] neg_hi:[0,0,1]
	v_pk_mul_f32 v[20:21], v[6:7], v[22:23] op_sel_hi:[0,1]
	v_pk_fma_f32 v[88:89], v[28:29], v[22:23], v[20:21] op_sel:[0,0,1] op_sel_hi:[1,1,0]
	v_pk_fma_f32 v[90:91], v[28:29], v[22:23], v[20:21] op_sel:[0,0,1] op_sel_hi:[0,1,0] neg_lo:[0,0,1] neg_hi:[0,0,1]
	ds_read2_b64 v[28:31], v51 offset0:68 offset1:193
	v_accvgpr_read_b32 v6, a96
	v_pk_mul_f32 v[26:27], v[6:7], v[42:43] op_sel_hi:[0,1]
	v_accvgpr_read_b32 v6, a84
	v_mov_b32_e32 v33, v39
	s_waitcnt lgkmcnt(0)
	v_pk_mul_f32 v[22:23], v[34:35], v[30:31] op_sel:[1,0]
	v_mov_b32_e32 v89, v91
	v_pk_fma_f32 v[20:21], v[34:35], v[30:31], v[22:23] op_sel:[0,0,1] op_sel_hi:[1,1,0]
	v_pk_fma_f32 v[24:25], v[34:35], v[30:31], v[22:23] op_sel:[0,0,1] op_sel_hi:[0,1,0] neg_lo:[0,0,1] neg_hi:[0,0,1]
	v_pk_fma_f32 v[22:23], v[36:37], v[42:43], v[26:27] op_sel:[0,0,1] op_sel_hi:[1,1,0]
	v_pk_fma_f32 v[26:27], v[36:37], v[42:43], v[26:27] op_sel:[0,0,1] op_sel_hi:[0,1,0] neg_lo:[0,0,1] neg_hi:[0,0,1]
	v_accvgpr_read_b32 v34, a80
	v_accvgpr_read_b32 v35, a81
	v_pk_mul_f32 v[30:31], v[34:35], v[28:29] op_sel:[1,0]
	v_accvgpr_read_b32 v36, a82
	v_pk_fma_f32 v[92:93], v[34:35], v[28:29], v[30:31] op_sel:[0,0,1] op_sel_hi:[1,1,0]
	v_pk_fma_f32 v[94:95], v[34:35], v[28:29], v[30:31] op_sel:[0,0,1] op_sel_hi:[0,1,0] neg_lo:[0,0,1] neg_hi:[0,0,1]
	v_pk_mul_f32 v[28:29], v[6:7], v[40:41] op_sel_hi:[0,1]
	v_pk_fma_f32 v[98:99], v[36:37], v[40:41], v[28:29] op_sel:[0,0,1] op_sel_hi:[1,1,0]
	v_pk_fma_f32 v[204:205], v[36:37], v[40:41], v[28:29] op_sel:[0,0,1] op_sel_hi:[0,1,0] neg_lo:[0,0,1] neg_hi:[0,0,1]
	ds_read2_b64 v[28:31], v55 offset0:110 offset1:235
	ds_read2_b64 v[40:43], v167 offset0:92 offset1:217
	v_accvgpr_read_b32 v36, a140
	v_accvgpr_read_b32 v37, a141
	;; [unrolled: 1-line block ×3, first 2 shown]
	s_waitcnt lgkmcnt(1)
	v_pk_mul_f32 v[34:35], v[36:37], v[30:31] op_sel:[1,0]
	v_accvgpr_read_b32 v38, a142
	v_pk_fma_f32 v[210:211], v[36:37], v[30:31], v[34:35] op_sel:[0,0,1] op_sel_hi:[1,1,0]
	v_pk_fma_f32 v[212:213], v[36:37], v[30:31], v[34:35] op_sel:[0,0,1] op_sel_hi:[0,1,0] neg_lo:[0,0,1] neg_hi:[0,0,1]
	v_accvgpr_read_b32 v34, a116
	s_waitcnt lgkmcnt(0)
	v_pk_mul_f32 v[30:31], v[6:7], v[42:43] op_sel_hi:[0,1]
	v_accvgpr_read_b32 v35, a117
	v_pk_fma_f32 v[214:215], v[38:39], v[42:43], v[30:31] op_sel:[0,0,1] op_sel_hi:[1,1,0]
	v_pk_fma_f32 v[216:217], v[38:39], v[42:43], v[30:31] op_sel:[0,0,1] op_sel_hi:[0,1,0] neg_lo:[0,0,1] neg_hi:[0,0,1]
	v_pk_mul_f32 v[30:31], v[34:35], v[28:29] op_sel:[1,0]
	v_accvgpr_read_b32 v6, a122
	v_accvgpr_read_b32 v36, a118
	v_pk_fma_f32 v[220:221], v[34:35], v[28:29], v[30:31] op_sel:[0,0,1] op_sel_hi:[1,1,0]
	v_pk_fma_f32 v[34:35], v[34:35], v[28:29], v[30:31] op_sel:[0,0,1] op_sel_hi:[0,1,0] neg_lo:[0,0,1] neg_hi:[0,0,1]
	v_pk_mul_f32 v[28:29], v[6:7], v[40:41] op_sel_hi:[0,1]
	v_pk_fma_f32 v[222:223], v[36:37], v[40:41], v[28:29] op_sel:[0,0,1] op_sel_hi:[1,1,0]
	v_pk_fma_f32 v[36:37], v[36:37], v[40:41], v[28:29] op_sel:[0,0,1] op_sel_hi:[0,1,0] neg_lo:[0,0,1] neg_hi:[0,0,1]
	ds_read2_b64 v[28:31], v87 offset0:74 offset1:199
	v_accvgpr_read_b32 v6, a138
	v_mov_b32_e32 v221, v35
	v_mov_b32_e32 v223, v37
	;; [unrolled: 1-line block ×3, first 2 shown]
	s_waitcnt lgkmcnt(0)
	v_pk_mul_f32 v[40:41], v[232:233], v[30:31] op_sel:[1,0]
	v_mov_b32_e32 v215, v217
	v_pk_fma_f32 v[226:227], v[232:233], v[30:31], v[40:41] op_sel:[0,0,1] op_sel_hi:[1,1,0]
	v_pk_fma_f32 v[230:231], v[232:233], v[30:31], v[40:41] op_sel:[0,0,1] op_sel_hi:[0,1,0] neg_lo:[0,0,1] neg_hi:[0,0,1]
	ds_read2_b64 v[40:43], v131 offset0:56 offset1:181
	v_mov_b32_e32 v227, v231
	v_mov_b32_e32 v93, v95
	;; [unrolled: 1-line block ×3, first 2 shown]
	v_pk_add_f32 v[38:39], v[32:33], v[98:99] neg_lo:[0,1] neg_hi:[0,1]
	s_waitcnt lgkmcnt(0)
	v_pk_mul_f32 v[30:31], v[6:7], v[42:43] op_sel_hi:[0,1]
	v_pk_fma_f32 v[232:233], v[234:235], v[42:43], v[30:31] op_sel:[0,0,1] op_sel_hi:[1,1,0]
	v_pk_fma_f32 v[234:235], v[234:235], v[42:43], v[30:31] op_sel:[0,0,1] op_sel_hi:[0,1,0] neg_lo:[0,0,1] neg_hi:[0,0,1]
	v_pk_mul_f32 v[30:31], v[238:239], v[28:29] op_sel:[1,0]
	v_accvgpr_read_b32 v6, a136
	v_pk_fma_f32 v[236:237], v[238:239], v[28:29], v[30:31] op_sel:[0,0,1] op_sel_hi:[1,1,0]
	v_pk_fma_f32 v[28:29], v[238:239], v[28:29], v[30:31] op_sel:[0,0,1] op_sel_hi:[0,1,0] neg_lo:[0,0,1] neg_hi:[0,0,1]
	v_pk_mul_f32 v[30:31], v[6:7], v[40:41] op_sel_hi:[0,1]
	v_pk_fma_f32 v[238:239], v[240:241], v[40:41], v[30:31] op_sel:[0,0,1] op_sel_hi:[1,1,0]
	v_pk_fma_f32 v[30:31], v[240:241], v[40:41], v[30:31] op_sel:[0,0,1] op_sel_hi:[0,1,0] neg_lo:[0,0,1] neg_hi:[0,0,1]
	v_mov_b32_e32 v237, v29
	v_mov_b32_e32 v239, v31
	v_pk_add_f32 v[28:29], v[220:221], v[222:223] neg_lo:[0,1] neg_hi:[0,1]
	v_pk_add_f32 v[30:31], v[238:239], v[236:237] neg_lo:[0,1] neg_hi:[0,1]
	v_pk_add_f32 v[34:35], v[222:223], v[236:237]
	v_pk_add_f32 v[240:241], v[28:29], v[30:31]
	ds_read2_b64 v[28:31], v96 offset1:125
	v_pk_add_f32 v[242:243], v[220:221], v[238:239] neg_lo:[0,1] neg_hi:[0,1]
	v_pk_add_f32 v[244:245], v[222:223], v[236:237] neg_lo:[0,1] neg_hi:[0,1]
	v_pk_mul_f32 v[36:37], v[242:243], s[6:7] op_sel_hi:[1,0]
	v_mov_b32_e32 v233, v235
	s_waitcnt lgkmcnt(0)
	v_pk_fma_f32 v[34:35], v[34:35], 0.5, v[28:29] op_sel_hi:[1,0,1] neg_lo:[1,0,0] neg_hi:[1,0,0]
	v_pk_add_f32 v[212:213], v[232:233], v[226:227] neg_lo:[0,1] neg_hi:[0,1]
	v_pk_add_f32 v[40:41], v[34:35], v[36:37] op_sel:[0,1] op_sel_hi:[1,0] neg_lo:[0,1] neg_hi:[0,1]
	v_pk_add_f32 v[34:35], v[34:35], v[36:37] op_sel:[0,1] op_sel_hi:[1,0]
	v_pk_mul_f32 v[36:37], v[244:245], s[8:9] op_sel_hi:[1,0]
	v_pk_add_f32 v[216:217], v[210:211], v[232:233] neg_lo:[0,1] neg_hi:[0,1]
	v_pk_add_f32 v[246:247], v[34:35], v[36:37] op_sel:[0,1] op_sel_hi:[1,0]
	v_pk_add_f32 v[34:35], v[28:29], v[220:221]
	v_pk_add_f32 v[248:249], v[40:41], v[36:37] op_sel:[0,1] op_sel_hi:[1,0] neg_lo:[0,1] neg_hi:[0,1]
	v_pk_add_f32 v[34:35], v[34:35], v[222:223]
	v_pk_add_f32 v[222:223], v[222:223], v[220:221] neg_lo:[0,1] neg_hi:[0,1]
	v_pk_add_f32 v[220:221], v[220:221], v[238:239]
	v_pk_add_f32 v[34:35], v[34:35], v[236:237]
	v_pk_add_f32 v[236:237], v[236:237], v[238:239] neg_lo:[0,1] neg_hi:[0,1]
	v_pk_fma_f32 v[28:29], v[220:221], 0.5, v[28:29] op_sel_hi:[1,0,1] neg_lo:[1,0,0] neg_hi:[1,0,0]
	v_pk_mul_f32 v[220:221], v[244:245], s[6:7] op_sel_hi:[1,0]
	v_pk_add_f32 v[222:223], v[222:223], v[236:237]
	v_pk_add_f32 v[236:237], v[28:29], v[220:221] op_sel:[0,1] op_sel_hi:[1,0]
	v_pk_add_f32 v[28:29], v[28:29], v[220:221] op_sel:[0,1] op_sel_hi:[1,0] neg_lo:[0,1] neg_hi:[0,1]
	v_pk_mul_f32 v[220:221], v[242:243], s[8:9] op_sel_hi:[1,0]
	v_mov_b32_e32 v253, v247
	v_pk_add_f32 v[28:29], v[28:29], v[220:221] op_sel:[0,1] op_sel_hi:[1,0]
	v_pk_add_f32 v[220:221], v[236:237], v[220:221] op_sel:[0,1] op_sel_hi:[1,0] neg_lo:[0,1] neg_hi:[0,1]
	v_mov_b32_e32 v237, v29
	v_mov_b32_e32 v236, v220
	;; [unrolled: 1-line block ×3, first 2 shown]
	v_pk_fma_f32 v[220:221], v[222:223], s[2:3], v[236:237] op_sel_hi:[1,0,1]
	v_pk_fma_f32 v[28:29], v[222:223], s[2:3], v[28:29] op_sel_hi:[1,0,1]
	v_mov_b32_e32 v247, v249
	v_pk_add_f32 v[250:251], v[34:35], v[238:239]
	ds_read2_b64 v[34:37], v59 offset0:116 offset1:241
	ds_read2_b64 v[40:43], v254 offset0:122 offset1:247
	s_waitcnt lgkmcnt(0)
	s_barrier
	ds_write2_b64 v1, v[220:221], v[28:29] offset0:6 offset1:9
	v_pk_fma_f32 v[28:29], v[240:241], s[2:3], v[246:247] op_sel_hi:[1,0,1]
	ds_write_b64 v1, v[28:29] offset:96
	v_pk_add_f32 v[28:29], v[210:211], v[214:215] neg_lo:[0,1] neg_hi:[0,1]
	v_pk_mul_f32 v[220:221], v[216:217], s[6:7] op_sel_hi:[1,0]
	v_pk_add_f32 v[28:29], v[28:29], v[212:213]
	v_pk_add_f32 v[212:213], v[214:215], v[226:227]
	v_mov_b32_e32 v252, v248
	v_pk_fma_f32 v[212:213], v[212:213], 0.5, v[30:31] op_sel_hi:[1,0,1] neg_lo:[1,0,0] neg_hi:[1,0,0]
	v_pk_fma_f32 v[252:253], v[240:241], s[2:3], v[252:253] op_sel_hi:[1,0,1]
	v_pk_add_f32 v[222:223], v[212:213], v[220:221] op_sel:[0,1] op_sel_hi:[1,0] neg_lo:[0,1] neg_hi:[0,1]
	v_pk_add_f32 v[212:213], v[212:213], v[220:221] op_sel:[0,1] op_sel_hi:[1,0]
	v_pk_add_f32 v[220:221], v[214:215], v[226:227] neg_lo:[0,1] neg_hi:[0,1]
	ds_write2_b64 v1, v[250:251], v[252:253] offset1:3
	v_pk_mul_f32 v[230:231], v[220:221], s[8:9] op_sel_hi:[1,0]
	v_accvgpr_read_b32 v1, a85
	v_pk_add_f32 v[212:213], v[212:213], v[230:231] op_sel:[0,1] op_sel_hi:[1,0]
	v_pk_add_f32 v[222:223], v[222:223], v[230:231] op_sel:[0,1] op_sel_hi:[1,0] neg_lo:[0,1] neg_hi:[0,1]
	v_pk_add_f32 v[230:231], v[30:31], v[210:211]
	v_mov_b32_e32 v234, v222
	v_pk_add_f32 v[230:231], v[230:231], v[214:215]
	v_mov_b32_e32 v235, v213
	v_pk_add_f32 v[230:231], v[230:231], v[226:227]
	v_pk_fma_f32 v[234:235], v[28:29], s[2:3], v[234:235] op_sel_hi:[1,0,1]
	v_pk_add_f32 v[230:231], v[230:231], v[232:233]
	ds_write2_b64 v1, v[230:231], v[234:235] offset1:3
	v_pk_add_f32 v[230:231], v[210:211], v[232:233]
	v_pk_add_f32 v[210:211], v[214:215], v[210:211] neg_lo:[0,1] neg_hi:[0,1]
	v_pk_add_f32 v[214:215], v[226:227], v[232:233] neg_lo:[0,1] neg_hi:[0,1]
	v_pk_fma_f32 v[30:31], v[230:231], 0.5, v[30:31] op_sel_hi:[1,0,1] neg_lo:[1,0,0] neg_hi:[1,0,0]
	v_pk_add_f32 v[210:211], v[210:211], v[214:215]
	v_pk_mul_f32 v[214:215], v[220:221], s[6:7] op_sel_hi:[1,0]
	v_mov_b32_e32 v213, v223
	v_pk_add_f32 v[220:221], v[30:31], v[214:215] op_sel:[0,1] op_sel_hi:[1,0]
	v_pk_add_f32 v[30:31], v[30:31], v[214:215] op_sel:[0,1] op_sel_hi:[1,0] neg_lo:[0,1] neg_hi:[0,1]
	v_pk_mul_f32 v[214:215], v[216:217], s[8:9] op_sel_hi:[1,0]
	v_pk_fma_f32 v[28:29], v[28:29], s[2:3], v[212:213] op_sel_hi:[1,0,1]
	v_pk_add_f32 v[30:31], v[30:31], v[214:215] op_sel:[0,1] op_sel_hi:[1,0]
	v_pk_add_f32 v[214:215], v[220:221], v[214:215] op_sel:[0,1] op_sel_hi:[1,0] neg_lo:[0,1] neg_hi:[0,1]
	v_mov_b32_e32 v217, v31
	v_mov_b32_e32 v216, v214
	;; [unrolled: 1-line block ×3, first 2 shown]
	v_pk_fma_f32 v[214:215], v[210:211], s[2:3], v[216:217] op_sel_hi:[1,0,1]
	v_pk_fma_f32 v[30:31], v[210:211], s[2:3], v[30:31] op_sel_hi:[1,0,1]
	ds_write2_b64 v1, v[214:215], v[30:31] offset0:6 offset1:9
	ds_write_b64 v1, v[28:29] offset:96
	v_pk_add_f32 v[28:29], v[32:33], v[88:89] neg_lo:[0,1] neg_hi:[0,1]
	v_pk_add_f32 v[30:31], v[98:99], v[92:93] neg_lo:[0,1] neg_hi:[0,1]
	;; [unrolled: 1-line block ×3, first 2 shown]
	v_pk_add_f32 v[28:29], v[28:29], v[30:31]
	v_pk_add_f32 v[30:31], v[88:89], v[92:93]
	;; [unrolled: 1-line block ×3, first 2 shown]
	v_pk_fma_f32 v[30:31], v[30:31], 0.5, v[40:41] op_sel_hi:[1,0,1] neg_lo:[1,0,0] neg_hi:[1,0,0]
	v_pk_add_f32 v[204:205], v[204:205], v[88:89]
	v_pk_fma_f32 v[90:91], v[38:39], s[6:7], v[30:31] op_sel:[1,0,0] op_sel_hi:[0,0,1]
	v_pk_fma_f32 v[30:31], v[38:39], s[6:7], v[30:31] op_sel:[1,0,0] op_sel_hi:[0,0,1] neg_lo:[1,0,0] neg_hi:[1,0,0]
	v_pk_fma_f32 v[30:31], v[94:95], s[8:9], v[30:31] op_sel:[1,0,0] op_sel_hi:[0,0,1] neg_lo:[1,0,0] neg_hi:[1,0,0]
	v_pk_fma_f32 v[90:91], v[94:95], s[8:9], v[90:91] op_sel:[1,0,0] op_sel_hi:[0,0,1]
	v_pk_add_f32 v[204:205], v[204:205], v[92:93]
	v_mov_b32_e32 v211, v31
	v_mov_b32_e32 v31, v91
	v_pk_add_f32 v[204:205], v[204:205], v[98:99]
	v_pk_fma_f32 v[30:31], v[28:29], s[2:3], v[30:31] op_sel_hi:[1,0,1]
	v_accvgpr_read_b32 v1, a91
	ds_write2_b64 v1, v[204:205], v[30:31] offset1:3
	v_pk_add_f32 v[30:31], v[88:89], v[32:33] neg_lo:[0,1] neg_hi:[0,1]
	v_pk_add_f32 v[32:33], v[32:33], v[98:99]
	v_mov_b32_e32 v3, v19
	v_pk_fma_f32 v[32:33], v[32:33], 0.5, v[40:41] op_sel_hi:[1,0,1] neg_lo:[1,0,0] neg_hi:[1,0,0]
	v_mov_b32_e32 v21, v25
	v_pk_fma_f32 v[40:41], v[94:95], s[6:7], v[32:33] op_sel:[1,0,0] op_sel_hi:[0,0,1] neg_lo:[1,0,0] neg_hi:[1,0,0]
	v_pk_fma_f32 v[32:33], v[94:95], s[6:7], v[32:33] op_sel:[1,0,0] op_sel_hi:[0,0,1]
	v_mov_b32_e32 v23, v27
	v_pk_add_f32 v[88:89], v[92:93], v[98:99] neg_lo:[0,1] neg_hi:[0,1]
	v_pk_fma_f32 v[32:33], v[38:39], s[8:9], v[32:33] op_sel:[1,0,0] op_sel_hi:[0,0,1] neg_lo:[1,0,0] neg_hi:[1,0,0]
	v_pk_fma_f32 v[38:39], v[38:39], s[8:9], v[40:41] op_sel:[1,0,0] op_sel_hi:[0,0,1]
	v_pk_add_f32 v[16:17], v[206:207], v[2:3] neg_lo:[0,1] neg_hi:[0,1]
	v_pk_add_f32 v[18:19], v[22:23], v[20:21] neg_lo:[0,1] neg_hi:[0,1]
	v_pk_add_f32 v[30:31], v[30:31], v[88:89]
	v_mov_b32_e32 v40, v38
	v_mov_b32_e32 v41, v33
	;; [unrolled: 1-line block ×4, first 2 shown]
	v_pk_add_f32 v[16:17], v[16:17], v[18:19]
	v_pk_add_f32 v[18:19], v[2:3], v[20:21]
	v_pk_fma_f32 v[38:39], v[30:31], s[2:3], v[40:41] op_sel_hi:[1,0,1]
	v_pk_fma_f32 v[30:31], v[30:31], s[2:3], v[32:33] op_sel_hi:[1,0,1]
	;; [unrolled: 1-line block ×3, first 2 shown]
	v_pk_fma_f32 v[18:19], v[18:19], 0.5, v[42:43] op_sel_hi:[1,0,1] neg_lo:[1,0,0] neg_hi:[1,0,0]
	v_pk_add_f32 v[24:25], v[206:207], v[22:23] neg_lo:[0,1] neg_hi:[0,1]
	ds_write2_b64 v1, v[30:31], v[38:39] offset0:6 offset1:9
	ds_write_b64 v1, v[28:29] offset:96
	v_pk_fma_f32 v[26:27], v[24:25], s[6:7], v[18:19] op_sel:[1,0,0] op_sel_hi:[0,0,1]
	v_pk_fma_f32 v[18:19], v[24:25], s[6:7], v[18:19] op_sel:[1,0,0] op_sel_hi:[0,0,1] neg_lo:[1,0,0] neg_hi:[1,0,0]
	v_pk_add_f32 v[28:29], v[2:3], v[20:21] neg_lo:[0,1] neg_hi:[0,1]
	v_pk_add_f32 v[30:31], v[42:43], v[206:207]
	v_pk_fma_f32 v[18:19], v[28:29], s[8:9], v[18:19] op_sel:[1,0,0] op_sel_hi:[0,0,1] neg_lo:[1,0,0] neg_hi:[1,0,0]
	v_pk_fma_f32 v[26:27], v[28:29], s[8:9], v[26:27] op_sel:[1,0,0] op_sel_hi:[0,0,1]
	v_pk_add_f32 v[30:31], v[30:31], v[2:3]
	v_mov_b32_e32 v33, v19
	v_pk_add_f32 v[30:31], v[30:31], v[20:21]
	v_mov_b32_e32 v19, v27
	v_pk_add_f32 v[30:31], v[30:31], v[22:23]
	v_pk_fma_f32 v[18:19], v[16:17], s[2:3], v[18:19] op_sel_hi:[1,0,1]
	v_accvgpr_read_b32 v1, a95
	ds_write2_b64 v1, v[30:31], v[18:19] offset1:3
	v_pk_add_f32 v[18:19], v[206:207], v[22:23]
	v_pk_add_f32 v[2:3], v[2:3], v[206:207] neg_lo:[0,1] neg_hi:[0,1]
	v_pk_fma_f32 v[18:19], v[18:19], 0.5, v[42:43] op_sel_hi:[1,0,1] neg_lo:[1,0,0] neg_hi:[1,0,0]
	v_pk_add_f32 v[20:21], v[20:21], v[22:23] neg_lo:[0,1] neg_hi:[0,1]
	v_mov_b32_e32 v32, v26
	v_pk_add_f32 v[2:3], v[2:3], v[20:21]
	v_pk_fma_f32 v[20:21], v[28:29], s[6:7], v[18:19] op_sel:[1,0,0] op_sel_hi:[0,0,1] neg_lo:[1,0,0] neg_hi:[1,0,0]
	v_pk_fma_f32 v[18:19], v[28:29], s[6:7], v[18:19] op_sel:[1,0,0] op_sel_hi:[0,0,1]
	v_pk_fma_f32 v[18:19], v[24:25], s[8:9], v[18:19] op_sel:[1,0,0] op_sel_hi:[0,0,1] neg_lo:[1,0,0] neg_hi:[1,0,0]
	v_pk_fma_f32 v[20:21], v[24:25], s[8:9], v[20:21] op_sel:[1,0,0] op_sel_hi:[0,0,1]
	v_mov_b32_e32 v22, v20
	v_mov_b32_e32 v23, v19
	;; [unrolled: 1-line block ×3, first 2 shown]
	v_pk_fma_f32 v[20:21], v[2:3], s[2:3], v[22:23] op_sel_hi:[1,0,1]
	v_pk_fma_f32 v[2:3], v[2:3], s[2:3], v[18:19] op_sel_hi:[1,0,1]
	ds_write2_b64 v1, v[2:3], v[20:21] offset0:6 offset1:9
	v_pk_fma_f32 v[2:3], v[16:17], s[2:3], v[32:33] op_sel_hi:[1,0,1]
	ds_write_b64 v1, v[2:3] offset:96
	v_pk_add_f32 v[2:3], v[194:195], v[196:197] neg_lo:[0,1] neg_hi:[0,1]
	v_pk_add_f32 v[16:17], v[200:201], v[198:199] neg_lo:[0,1] neg_hi:[0,1]
	;; [unrolled: 1-line block ×3, first 2 shown]
	v_pk_add_f32 v[2:3], v[2:3], v[16:17]
	v_pk_add_f32 v[16:17], v[196:197], v[198:199]
	v_pk_add_f32 v[22:23], v[196:197], v[198:199] neg_lo:[0,1] neg_hi:[0,1]
	v_pk_fma_f32 v[16:17], v[16:17], 0.5, v[34:35] op_sel_hi:[1,0,1] neg_lo:[1,0,0] neg_hi:[1,0,0]
	v_pk_add_f32 v[24:25], v[34:35], v[194:195]
	v_pk_fma_f32 v[20:21], v[18:19], s[6:7], v[16:17] op_sel:[1,0,0] op_sel_hi:[0,0,1]
	v_pk_fma_f32 v[16:17], v[18:19], s[6:7], v[16:17] op_sel:[1,0,0] op_sel_hi:[0,0,1] neg_lo:[1,0,0] neg_hi:[1,0,0]
	v_pk_fma_f32 v[16:17], v[22:23], s[8:9], v[16:17] op_sel:[1,0,0] op_sel_hi:[0,0,1] neg_lo:[1,0,0] neg_hi:[1,0,0]
	v_pk_fma_f32 v[20:21], v[22:23], s[8:9], v[20:21] op_sel:[1,0,0] op_sel_hi:[0,0,1]
	v_pk_add_f32 v[24:25], v[24:25], v[196:197]
	v_mov_b32_e32 v27, v17
	v_pk_add_f32 v[24:25], v[24:25], v[198:199]
	v_mov_b32_e32 v17, v21
	v_pk_add_f32 v[24:25], v[24:25], v[200:201]
	v_pk_fma_f32 v[16:17], v[2:3], s[2:3], v[16:17] op_sel_hi:[1,0,1]
	v_accvgpr_read_b32 v1, a97
	ds_write2_b64 v1, v[24:25], v[16:17] offset1:3
	v_pk_add_f32 v[24:25], v[194:195], v[200:201]
	v_pk_add_f32 v[16:17], v[196:197], v[194:195] neg_lo:[0,1] neg_hi:[0,1]
	v_pk_add_f32 v[28:29], v[198:199], v[200:201] neg_lo:[0,1] neg_hi:[0,1]
	v_pk_fma_f32 v[24:25], v[24:25], 0.5, v[34:35] op_sel_hi:[1,0,1] neg_lo:[1,0,0] neg_hi:[1,0,0]
	v_pk_add_f32 v[16:17], v[16:17], v[28:29]
	v_pk_fma_f32 v[28:29], v[22:23], s[6:7], v[24:25] op_sel:[1,0,0] op_sel_hi:[0,0,1] neg_lo:[1,0,0] neg_hi:[1,0,0]
	v_pk_fma_f32 v[22:23], v[22:23], s[6:7], v[24:25] op_sel:[1,0,0] op_sel_hi:[0,0,1]
	v_pk_fma_f32 v[22:23], v[18:19], s[8:9], v[22:23] op_sel:[1,0,0] op_sel_hi:[0,0,1] neg_lo:[1,0,0] neg_hi:[1,0,0]
	v_pk_fma_f32 v[18:19], v[18:19], s[8:9], v[28:29] op_sel:[1,0,0] op_sel_hi:[0,0,1]
	v_mov_b32_e32 v24, v18
	v_mov_b32_e32 v25, v23
	;; [unrolled: 1-line block ×4, first 2 shown]
	v_pk_fma_f32 v[18:19], v[16:17], s[2:3], v[24:25] op_sel_hi:[1,0,1]
	v_pk_fma_f32 v[16:17], v[16:17], s[2:3], v[22:23] op_sel_hi:[1,0,1]
	;; [unrolled: 1-line block ×3, first 2 shown]
	ds_write2_b64 v1, v[16:17], v[18:19] offset0:6 offset1:9
	ds_write_b64 v1, v[2:3] offset:96
	v_mov_b32_e32 v1, v193
	v_pk_add_f32 v[2:3], v[0:1], v[12:13] neg_lo:[0,1] neg_hi:[0,1]
	v_pk_add_f32 v[6:7], v[4:5], v[8:9] neg_lo:[0,1] neg_hi:[0,1]
	;; [unrolled: 1-line block ×3, first 2 shown]
	v_pk_add_f32 v[2:3], v[2:3], v[6:7]
	v_pk_add_f32 v[6:7], v[12:13], v[8:9]
	v_pk_add_f32 v[16:17], v[12:13], v[8:9] neg_lo:[0,1] neg_hi:[0,1]
	v_pk_fma_f32 v[6:7], v[6:7], 0.5, v[36:37] op_sel_hi:[1,0,1] neg_lo:[1,0,0] neg_hi:[1,0,0]
	v_pk_add_f32 v[18:19], v[36:37], v[0:1]
	v_pk_fma_f32 v[14:15], v[10:11], s[6:7], v[6:7] op_sel:[1,0,0] op_sel_hi:[0,0,1]
	v_pk_fma_f32 v[6:7], v[10:11], s[6:7], v[6:7] op_sel:[1,0,0] op_sel_hi:[0,0,1] neg_lo:[1,0,0] neg_hi:[1,0,0]
	v_pk_fma_f32 v[6:7], v[16:17], s[8:9], v[6:7] op_sel:[1,0,0] op_sel_hi:[0,0,1] neg_lo:[1,0,0] neg_hi:[1,0,0]
	v_pk_fma_f32 v[14:15], v[16:17], s[8:9], v[14:15] op_sel:[1,0,0] op_sel_hi:[0,0,1]
	v_pk_add_f32 v[18:19], v[18:19], v[12:13]
	v_mov_b32_e32 v21, v7
	v_pk_add_f32 v[18:19], v[18:19], v[8:9]
	v_mov_b32_e32 v7, v15
	v_pk_add_f32 v[18:19], v[18:19], v[4:5]
	v_pk_fma_f32 v[6:7], v[2:3], s[2:3], v[6:7] op_sel_hi:[1,0,1]
	v_accvgpr_read_b32 v15, a89
	ds_write2_b64 v15, v[18:19], v[6:7] offset1:3
	v_pk_add_f32 v[6:7], v[0:1], v[4:5]
	v_pk_add_f32 v[0:1], v[12:13], v[0:1] neg_lo:[0,1] neg_hi:[0,1]
	v_pk_fma_f32 v[6:7], v[6:7], 0.5, v[36:37] op_sel_hi:[1,0,1] neg_lo:[1,0,0] neg_hi:[1,0,0]
	v_pk_add_f32 v[4:5], v[8:9], v[4:5] neg_lo:[0,1] neg_hi:[0,1]
	v_mov_b32_e32 v20, v14
	v_pk_add_f32 v[0:1], v[0:1], v[4:5]
	v_pk_fma_f32 v[4:5], v[16:17], s[6:7], v[6:7] op_sel:[1,0,0] op_sel_hi:[0,0,1] neg_lo:[1,0,0] neg_hi:[1,0,0]
	v_pk_fma_f32 v[6:7], v[16:17], s[6:7], v[6:7] op_sel:[1,0,0] op_sel_hi:[0,0,1]
	v_pk_fma_f32 v[6:7], v[10:11], s[8:9], v[6:7] op_sel:[1,0,0] op_sel_hi:[0,0,1] neg_lo:[1,0,0] neg_hi:[1,0,0]
	v_pk_fma_f32 v[4:5], v[10:11], s[8:9], v[4:5] op_sel:[1,0,0] op_sel_hi:[0,0,1]
	v_mov_b32_e32 v8, v4
	v_mov_b32_e32 v9, v7
	;; [unrolled: 1-line block ×3, first 2 shown]
	v_pk_fma_f32 v[4:5], v[0:1], s[2:3], v[8:9] op_sel_hi:[1,0,1]
	v_pk_fma_f32 v[0:1], v[0:1], s[2:3], v[6:7] op_sel_hi:[1,0,1]
	v_accvgpr_read_b32 v6, a89
	ds_write2_b64 v6, v[0:1], v[4:5] offset0:6 offset1:9
	v_pk_fma_f32 v[0:1], v[2:3], s[2:3], v[20:21] op_sel_hi:[1,0,1]
	ds_write_b64 v6, v[0:1] offset:96
	s_waitcnt lgkmcnt(0)
	s_barrier
	ds_read2_b64 v[2:5], v71 offset0:98 offset1:223
	v_accvgpr_read_b32 v12, a154
	v_accvgpr_read_b32 v13, a155
	;; [unrolled: 1-line block ×3, first 2 shown]
	ds_read2_b64 v[30:33], v155 offset0:62 offset1:187
	s_waitcnt lgkmcnt(1)
	v_pk_mul_f32 v[6:7], v[12:13], v[4:5] op_sel:[1,0]
	ds_read2_b64 v[40:43], v97 offset0:104 offset1:229
	v_pk_fma_f32 v[0:1], v[12:13], v[4:5], v[6:7] op_sel:[0,0,1] op_sel_hi:[1,1,0]
	v_pk_fma_f32 v[6:7], v[12:13], v[4:5], v[6:7] op_sel:[0,0,1] op_sel_hi:[0,1,0] neg_lo:[0,0,1] neg_hi:[0,0,1]
	ds_read2_b64 v[10:13], v83 offset0:80 offset1:205
	v_accvgpr_read_b32 v4, a166
	v_accvgpr_read_b32 v6, a170
	ds_read2_b64 v[192:195], v123 offset0:50 offset1:175
	v_accvgpr_read_b32 v1, a105
	s_waitcnt lgkmcnt(1)
	v_pk_mul_f32 v[8:9], v[4:5], v[12:13] op_sel_hi:[0,1]
	v_pk_fma_f32 v[4:5], v[14:15], v[12:13], v[8:9] op_sel:[0,0,1] op_sel_hi:[1,1,0]
	v_pk_fma_f32 v[8:9], v[14:15], v[12:13], v[8:9] op_sel:[0,0,1] op_sel_hi:[0,1,0] neg_lo:[0,0,1] neg_hi:[0,0,1]
	v_accvgpr_read_b32 v14, a158
	v_accvgpr_read_b32 v15, a159
	v_pk_mul_f32 v[12:13], v[14:15], v[2:3] op_sel:[1,0]
	v_accvgpr_read_b32 v16, a160
	v_pk_fma_f32 v[18:19], v[14:15], v[2:3], v[12:13] op_sel:[0,0,1] op_sel_hi:[1,1,0]
	v_pk_fma_f32 v[26:27], v[14:15], v[2:3], v[12:13] op_sel:[0,0,1] op_sel_hi:[0,1,0] neg_lo:[0,0,1] neg_hi:[0,0,1]
	v_accvgpr_read_b32 v2, a162
	v_pk_mul_f32 v[2:3], v[2:3], v[10:11] op_sel_hi:[0,1]
	v_pk_fma_f32 v[20:21], v[16:17], v[10:11], v[2:3] op_sel:[0,0,1] op_sel_hi:[1,1,0]
	v_pk_fma_f32 v[28:29], v[16:17], v[10:11], v[2:3] op_sel:[0,0,1] op_sel_hi:[0,1,0] neg_lo:[0,0,1] neg_hi:[0,0,1]
	v_pk_mul_f32 v[2:3], v[64:65], v[32:33] op_sel:[1,0]
	v_mov_b32_e32 v19, v27
	v_pk_fma_f32 v[10:11], v[64:65], v[32:33], v[2:3] op_sel:[0,0,1] op_sel_hi:[1,1,0]
	v_pk_fma_f32 v[14:15], v[64:65], v[32:33], v[2:3] op_sel:[0,0,1] op_sel_hi:[0,1,0] neg_lo:[0,0,1] neg_hi:[0,0,1]
	ds_read2_b64 v[32:35], v115 offset0:44 offset1:169
	v_accvgpr_read_b32 v2, a168
	v_mov_b32_e32 v21, v29
	v_mov_b32_e32 v5, v9
	;; [unrolled: 1-line block ×3, first 2 shown]
	s_waitcnt lgkmcnt(0)
	v_pk_mul_f32 v[2:3], v[2:3], v[34:35] op_sel_hi:[0,1]
	v_pk_fma_f32 v[12:13], v[66:67], v[34:35], v[2:3] op_sel:[0,0,1] op_sel_hi:[1,1,0]
	v_pk_fma_f32 v[16:17], v[66:67], v[34:35], v[2:3] op_sel:[0,0,1] op_sel_hi:[0,1,0] neg_lo:[0,0,1] neg_hi:[0,0,1]
	v_pk_mul_f32 v[2:3], v[44:45], v[30:31] op_sel:[1,0]
	v_mov_b32_e32 v13, v17
	v_pk_fma_f32 v[22:23], v[44:45], v[30:31], v[2:3] op_sel:[0,0,1] op_sel_hi:[1,1,0]
	v_pk_fma_f32 v[30:31], v[44:45], v[30:31], v[2:3] op_sel:[0,0,1] op_sel_hi:[0,1,0] neg_lo:[0,0,1] neg_hi:[0,0,1]
	v_accvgpr_read_b32 v2, a164
	v_pk_mul_f32 v[2:3], v[2:3], v[32:33] op_sel_hi:[0,1]
	v_pk_fma_f32 v[24:25], v[46:47], v[32:33], v[2:3] op_sel:[0,0,1] op_sel_hi:[1,1,0]
	v_pk_fma_f32 v[32:33], v[46:47], v[32:33], v[2:3] op_sel:[0,0,1] op_sel_hi:[0,1,0] neg_lo:[0,0,1] neg_hi:[0,0,1]
	v_pk_mul_f32 v[2:3], v[72:73], v[42:43] op_sel:[1,0]
	v_mov_b32_e32 v23, v31
	v_pk_fma_f32 v[34:35], v[72:73], v[42:43], v[2:3] op_sel:[0,0,1] op_sel_hi:[1,1,0]
	v_pk_fma_f32 v[36:37], v[72:73], v[42:43], v[2:3] op_sel:[0,0,1] op_sel_hi:[0,1,0] neg_lo:[0,0,1] neg_hi:[0,0,1]
	ds_read2_b64 v[42:45], v135 offset0:86 offset1:211
	v_accvgpr_read_b32 v2, a176
	v_mov_b32_e32 v35, v37
	v_mov_b32_e32 v25, v33
	v_pk_add_f32 v[26:27], v[24:25], v[22:23] neg_lo:[0,1] neg_hi:[0,1]
	s_waitcnt lgkmcnt(0)
	v_pk_mul_f32 v[38:39], v[2:3], v[44:45] op_sel_hi:[0,1]
	v_pk_fma_f32 v[2:3], v[74:75], v[44:45], v[38:39] op_sel:[0,0,1] op_sel_hi:[1,1,0]
	v_pk_fma_f32 v[38:39], v[74:75], v[44:45], v[38:39] op_sel:[0,0,1] op_sel_hi:[0,1,0] neg_lo:[0,0,1] neg_hi:[0,0,1]
	v_pk_mul_f32 v[44:45], v[84:85], v[40:41] op_sel:[1,0]
	v_mov_b32_e32 v3, v39
	v_pk_fma_f32 v[64:65], v[84:85], v[40:41], v[44:45] op_sel:[0,0,1] op_sel_hi:[1,1,0]
	v_pk_fma_f32 v[72:73], v[84:85], v[40:41], v[44:45] op_sel:[0,0,1] op_sel_hi:[0,1,0] neg_lo:[0,0,1] neg_hi:[0,0,1]
	v_pk_mul_f32 v[40:41], v[6:7], v[42:43] op_sel_hi:[0,1]
	v_pk_fma_f32 v[88:89], v[86:87], v[42:43], v[40:41] op_sel:[0,0,1] op_sel_hi:[1,1,0]
	v_pk_fma_f32 v[90:91], v[86:87], v[42:43], v[40:41] op_sel:[0,0,1] op_sel_hi:[0,1,0] neg_lo:[0,0,1] neg_hi:[0,0,1]
	ds_read2_b64 v[84:87], v51 offset0:68 offset1:193
	v_accvgpr_read_b32 v6, a174
	v_pk_mul_f32 v[46:47], v[6:7], v[194:195] op_sel_hi:[0,1]
	v_accvgpr_read_b32 v6, a172
	v_mov_b32_e32 v65, v73
	s_waitcnt lgkmcnt(0)
	v_pk_mul_f32 v[42:43], v[80:81], v[86:87] op_sel:[1,0]
	v_mov_b32_e32 v89, v91
	v_pk_fma_f32 v[40:41], v[80:81], v[86:87], v[42:43] op_sel:[0,0,1] op_sel_hi:[1,1,0]
	v_pk_fma_f32 v[44:45], v[80:81], v[86:87], v[42:43] op_sel:[0,0,1] op_sel_hi:[0,1,0] neg_lo:[0,0,1] neg_hi:[0,0,1]
	v_pk_mul_f32 v[80:81], v[76:77], v[84:85] op_sel:[1,0]
	v_pk_fma_f32 v[42:43], v[82:83], v[194:195], v[46:47] op_sel:[0,0,1] op_sel_hi:[1,1,0]
	v_pk_fma_f32 v[92:93], v[76:77], v[84:85], v[80:81] op_sel:[0,0,1] op_sel_hi:[1,1,0]
	v_pk_fma_f32 v[76:77], v[76:77], v[84:85], v[80:81] op_sel:[0,0,1] op_sel_hi:[0,1,0] neg_lo:[0,0,1] neg_hi:[0,0,1]
	v_pk_mul_f32 v[80:81], v[6:7], v[192:193] op_sel_hi:[0,1]
	v_pk_fma_f32 v[46:47], v[82:83], v[194:195], v[46:47] op_sel:[0,0,1] op_sel_hi:[0,1,0] neg_lo:[0,0,1] neg_hi:[0,0,1]
	v_pk_fma_f32 v[94:95], v[78:79], v[192:193], v[80:81] op_sel:[0,0,1] op_sel_hi:[1,1,0]
	v_pk_fma_f32 v[98:99], v[78:79], v[192:193], v[80:81] op_sel:[0,0,1] op_sel_hi:[0,1,0] neg_lo:[0,0,1] neg_hi:[0,0,1]
	ds_read2_b64 v[80:83], v55 offset0:110 offset1:235
	v_accvgpr_read_b32 v6, a184
	v_mov_b32_e32 v93, v77
	v_mov_b32_e32 v95, v99
	;; [unrolled: 1-line block ×3, first 2 shown]
	s_waitcnt lgkmcnt(0)
	v_pk_mul_f32 v[84:85], v[60:61], v[82:83] op_sel:[1,0]
	v_mov_b32_e32 v43, v47
	v_pk_fma_f32 v[196:197], v[60:61], v[82:83], v[84:85] op_sel:[0,0,1] op_sel_hi:[1,1,0]
	v_pk_fma_f32 v[60:61], v[60:61], v[82:83], v[84:85] op_sel:[0,0,1] op_sel_hi:[0,1,0] neg_lo:[0,0,1] neg_hi:[0,0,1]
	ds_read2_b64 v[82:85], v167 offset0:92 offset1:217
	v_mov_b32_e32 v197, v61
	v_pk_add_f32 v[36:37], v[34:35], v[2:3] neg_lo:[0,1] neg_hi:[0,1]
	v_pk_add_f32 v[38:39], v[42:43], v[40:41] neg_lo:[0,1] neg_hi:[0,1]
	;; [unrolled: 1-line block ×3, first 2 shown]
	s_waitcnt lgkmcnt(0)
	v_pk_mul_f32 v[86:87], v[6:7], v[84:85] op_sel_hi:[0,1]
	v_pk_fma_f32 v[198:199], v[62:63], v[84:85], v[86:87] op_sel:[0,0,1] op_sel_hi:[1,1,0]
	v_pk_fma_f32 v[200:201], v[62:63], v[84:85], v[86:87] op_sel:[0,0,1] op_sel_hi:[0,1,0] neg_lo:[0,0,1] neg_hi:[0,0,1]
	v_pk_mul_f32 v[84:85], v[104:105], v[80:81] op_sel:[1,0]
	v_accvgpr_read_b32 v6, a178
	v_pk_fma_f32 v[202:203], v[104:105], v[80:81], v[84:85] op_sel:[0,0,1] op_sel_hi:[1,1,0]
	v_pk_fma_f32 v[86:87], v[104:105], v[80:81], v[84:85] op_sel:[0,0,1] op_sel_hi:[0,1,0] neg_lo:[0,0,1] neg_hi:[0,0,1]
	v_pk_mul_f32 v[80:81], v[6:7], v[82:83] op_sel_hi:[0,1]
	v_pk_fma_f32 v[104:105], v[106:107], v[82:83], v[80:81] op_sel:[0,0,1] op_sel_hi:[1,1,0]
	v_pk_fma_f32 v[192:193], v[106:107], v[82:83], v[80:81] op_sel:[0,0,1] op_sel_hi:[0,1,0] neg_lo:[0,0,1] neg_hi:[0,0,1]
	ds_read2_b64 v[80:83], v111 offset0:74 offset1:199
	v_accvgpr_read_b32 v6, a182
	v_mov_b32_e32 v203, v87
	v_mov_b32_e32 v105, v193
	;; [unrolled: 1-line block ×3, first 2 shown]
	s_waitcnt lgkmcnt(0)
	v_pk_mul_f32 v[84:85], v[56:57], v[82:83] op_sel:[1,0]
	v_pk_add_f32 v[36:37], v[36:37], v[38:39]
	v_pk_fma_f32 v[204:205], v[56:57], v[82:83], v[84:85] op_sel:[0,0,1] op_sel_hi:[1,1,0]
	v_pk_fma_f32 v[56:57], v[56:57], v[82:83], v[84:85] op_sel:[0,0,1] op_sel_hi:[0,1,0] neg_lo:[0,0,1] neg_hi:[0,0,1]
	ds_read2_b64 v[82:85], v131 offset0:56 offset1:181
	v_mov_b32_e32 v205, v57
	v_pk_add_f32 v[38:39], v[2:3], v[40:41]
	v_pk_add_f32 v[28:29], v[18:19], v[24:25] neg_lo:[0,1] neg_hi:[0,1]
	v_pk_add_f32 v[32:33], v[20:21], v[22:23] neg_lo:[0,1] neg_hi:[0,1]
	s_waitcnt lgkmcnt(0)
	v_pk_mul_f32 v[194:195], v[6:7], v[84:85] op_sel_hi:[0,1]
	v_pk_fma_f32 v[206:207], v[58:59], v[84:85], v[194:195] op_sel:[0,0,1] op_sel_hi:[1,1,0]
	v_pk_fma_f32 v[208:209], v[58:59], v[84:85], v[194:195] op_sel:[0,0,1] op_sel_hi:[0,1,0] neg_lo:[0,0,1] neg_hi:[0,0,1]
	v_pk_mul_f32 v[84:85], v[52:53], v[80:81] op_sel:[1,0]
	v_accvgpr_read_b32 v6, a180
	v_pk_fma_f32 v[210:211], v[52:53], v[80:81], v[84:85] op_sel:[0,0,1] op_sel_hi:[1,1,0]
	v_pk_fma_f32 v[52:53], v[52:53], v[80:81], v[84:85] op_sel:[0,0,1] op_sel_hi:[0,1,0] neg_lo:[0,0,1] neg_hi:[0,0,1]
	v_pk_mul_f32 v[80:81], v[6:7], v[82:83] op_sel_hi:[0,1]
	v_pk_fma_f32 v[212:213], v[54:55], v[82:83], v[80:81] op_sel:[0,0,1] op_sel_hi:[1,1,0]
	v_pk_fma_f32 v[80:81], v[54:55], v[82:83], v[80:81] op_sel:[0,0,1] op_sel_hi:[0,1,0] neg_lo:[0,0,1] neg_hi:[0,0,1]
	v_mov_b32_e32 v211, v53
	v_mov_b32_e32 v213, v81
	v_pk_add_f32 v[52:53], v[202:203], v[104:105] neg_lo:[0,1] neg_hi:[0,1]
	v_pk_add_f32 v[80:81], v[212:213], v[210:211] neg_lo:[0,1] neg_hi:[0,1]
	v_pk_add_f32 v[84:85], v[104:105], v[210:211]
	v_pk_add_f32 v[52:53], v[52:53], v[80:81]
	ds_read2_b64 v[80:83], v96 offset1:125
	v_pk_add_f32 v[214:215], v[202:203], v[212:213] neg_lo:[0,1] neg_hi:[0,1]
	v_pk_add_f32 v[216:217], v[104:105], v[210:211] neg_lo:[0,1] neg_hi:[0,1]
	v_pk_mul_f32 v[86:87], v[214:215], s[6:7] op_sel_hi:[1,0]
	v_mov_b32_e32 v207, v209
	s_waitcnt lgkmcnt(0)
	v_pk_fma_f32 v[84:85], v[84:85], 0.5, v[80:81] op_sel_hi:[1,0,1] neg_lo:[1,0,0] neg_hi:[1,0,0]
	v_pk_add_f32 v[54:55], v[206:207], v[204:205] neg_lo:[0,1] neg_hi:[0,1]
	v_pk_add_f32 v[192:193], v[84:85], v[86:87] op_sel:[0,1] op_sel_hi:[1,0] neg_lo:[0,1] neg_hi:[0,1]
	v_pk_add_f32 v[84:85], v[84:85], v[86:87] op_sel:[0,1] op_sel_hi:[1,0]
	v_pk_mul_f32 v[86:87], v[216:217], s[8:9] op_sel_hi:[1,0]
	v_pk_add_f32 v[56:57], v[196:197], v[206:207] neg_lo:[0,1] neg_hi:[0,1]
	v_pk_add_f32 v[218:219], v[84:85], v[86:87] op_sel:[0,1] op_sel_hi:[1,0]
	v_pk_add_f32 v[84:85], v[80:81], v[202:203]
	v_pk_add_f32 v[220:221], v[192:193], v[86:87] op_sel:[0,1] op_sel_hi:[1,0] neg_lo:[0,1] neg_hi:[0,1]
	v_pk_add_f32 v[84:85], v[84:85], v[104:105]
	v_pk_add_f32 v[104:105], v[104:105], v[202:203] neg_lo:[0,1] neg_hi:[0,1]
	v_pk_add_f32 v[202:203], v[202:203], v[212:213]
	v_pk_add_f32 v[84:85], v[84:85], v[210:211]
	v_mov_b32_e32 v226, v220
	v_mov_b32_e32 v227, v219
	v_pk_add_f32 v[210:211], v[210:211], v[212:213] neg_lo:[0,1] neg_hi:[0,1]
	v_pk_fma_f32 v[80:81], v[202:203], 0.5, v[80:81] op_sel_hi:[1,0,1] neg_lo:[1,0,0] neg_hi:[1,0,0]
	v_pk_mul_f32 v[202:203], v[216:217], s[6:7] op_sel_hi:[1,0]
	v_mov_b32_e32 v219, v221
	v_pk_fma_f32 v[226:227], v[52:53], s[2:3], v[226:227] op_sel_hi:[1,0,1]
	v_pk_add_f32 v[104:105], v[104:105], v[210:211]
	v_pk_add_f32 v[210:211], v[80:81], v[202:203] op_sel:[0,1] op_sel_hi:[1,0]
	v_pk_add_f32 v[80:81], v[80:81], v[202:203] op_sel:[0,1] op_sel_hi:[1,0] neg_lo:[0,1] neg_hi:[0,1]
	v_pk_mul_f32 v[202:203], v[214:215], s[8:9] op_sel_hi:[1,0]
	v_pk_fma_f32 v[52:53], v[52:53], s[2:3], v[218:219] op_sel_hi:[1,0,1]
	v_pk_add_f32 v[222:223], v[84:85], v[212:213]
	ds_read2_b64 v[84:87], v59 offset0:116 offset1:241
	ds_read2_b64 v[192:195], v254 offset0:122 offset1:247
	s_waitcnt lgkmcnt(0)
	s_barrier
	v_pk_add_f32 v[80:81], v[80:81], v[202:203] op_sel:[0,1] op_sel_hi:[1,0]
	v_pk_add_f32 v[202:203], v[210:211], v[202:203] op_sel:[0,1] op_sel_hi:[1,0] neg_lo:[0,1] neg_hi:[0,1]
	ds_write_b64 v1, v[52:53] offset:480
	v_pk_add_f32 v[52:53], v[196:197], v[198:199] neg_lo:[0,1] neg_hi:[0,1]
	v_mov_b32_e32 v210, v202
	v_mov_b32_e32 v211, v81
	;; [unrolled: 1-line block ×3, first 2 shown]
	v_pk_add_f32 v[52:53], v[52:53], v[54:55]
	v_pk_add_f32 v[54:55], v[198:199], v[204:205]
	v_pk_fma_f32 v[202:203], v[104:105], s[2:3], v[210:211] op_sel_hi:[1,0,1]
	v_pk_fma_f32 v[80:81], v[104:105], s[2:3], v[80:81] op_sel_hi:[1,0,1]
	v_pk_fma_f32 v[54:55], v[54:55], 0.5, v[82:83] op_sel_hi:[1,0,1] neg_lo:[1,0,0] neg_hi:[1,0,0]
	v_pk_mul_f32 v[60:61], v[56:57], s[6:7] op_sel_hi:[1,0]
	ds_write2_b64 v1, v[202:203], v[80:81] offset0:30 offset1:45
	v_pk_add_f32 v[80:81], v[54:55], v[60:61] op_sel:[0,1] op_sel_hi:[1,0] neg_lo:[0,1] neg_hi:[0,1]
	v_pk_add_f32 v[54:55], v[54:55], v[60:61] op_sel:[0,1] op_sel_hi:[1,0]
	v_pk_add_f32 v[60:61], v[198:199], v[204:205] neg_lo:[0,1] neg_hi:[0,1]
	ds_write2_b64 v1, v[222:223], v[226:227] offset1:15
	v_pk_mul_f32 v[104:105], v[60:61], s[8:9] op_sel_hi:[1,0]
	v_pk_mul_f32 v[60:61], v[60:61], s[6:7] op_sel_hi:[1,0]
	v_pk_add_f32 v[54:55], v[54:55], v[104:105] op_sel:[0,1] op_sel_hi:[1,0]
	v_pk_add_f32 v[80:81], v[80:81], v[104:105] op_sel:[0,1] op_sel_hi:[1,0] neg_lo:[0,1] neg_hi:[0,1]
	v_pk_add_f32 v[104:105], v[82:83], v[196:197]
	v_mov_b32_e32 v200, v80
	v_pk_add_f32 v[104:105], v[104:105], v[198:199]
	v_mov_b32_e32 v201, v55
	v_pk_add_f32 v[104:105], v[104:105], v[204:205]
	v_pk_fma_f32 v[200:201], v[52:53], s[2:3], v[200:201] op_sel_hi:[1,0,1]
	v_pk_add_f32 v[104:105], v[104:105], v[206:207]
	ds_write2_b64 v63, v[104:105], v[200:201] offset1:15
	v_pk_add_f32 v[104:105], v[196:197], v[206:207]
	v_pk_mul_f32 v[56:57], v[56:57], s[8:9] op_sel_hi:[1,0]
	v_pk_fma_f32 v[82:83], v[104:105], 0.5, v[82:83] op_sel_hi:[1,0,1] neg_lo:[1,0,0] neg_hi:[1,0,0]
	v_pk_add_f32 v[104:105], v[198:199], v[196:197] neg_lo:[0,1] neg_hi:[0,1]
	v_pk_add_f32 v[196:197], v[204:205], v[206:207] neg_lo:[0,1] neg_hi:[0,1]
	v_mov_b32_e32 v55, v81
	v_pk_add_f32 v[104:105], v[104:105], v[196:197]
	v_pk_add_f32 v[196:197], v[82:83], v[60:61] op_sel:[0,1] op_sel_hi:[1,0]
	v_pk_add_f32 v[60:61], v[82:83], v[60:61] op_sel:[0,1] op_sel_hi:[1,0] neg_lo:[0,1] neg_hi:[0,1]
	v_pk_fma_f32 v[52:53], v[52:53], s[2:3], v[54:55] op_sel_hi:[1,0,1]
	v_pk_add_f32 v[60:61], v[60:61], v[56:57] op_sel:[0,1] op_sel_hi:[1,0]
	v_pk_add_f32 v[56:57], v[196:197], v[56:57] op_sel:[0,1] op_sel_hi:[1,0] neg_lo:[0,1] neg_hi:[0,1]
	v_mov_b32_e32 v83, v61
	v_mov_b32_e32 v82, v56
	;; [unrolled: 1-line block ×3, first 2 shown]
	ds_write_b64 v63, v[52:53] offset:480
	v_pk_add_f32 v[52:53], v[64:65], v[88:89] neg_lo:[0,1] neg_hi:[0,1]
	v_pk_add_f32 v[54:55], v[94:95], v[92:93] neg_lo:[0,1] neg_hi:[0,1]
	v_pk_fma_f32 v[56:57], v[104:105], s[2:3], v[82:83] op_sel_hi:[1,0,1]
	v_pk_fma_f32 v[60:61], v[104:105], s[2:3], v[60:61] op_sel_hi:[1,0,1]
	v_pk_add_f32 v[52:53], v[52:53], v[54:55]
	v_pk_add_f32 v[54:55], v[88:89], v[92:93]
	ds_write2_b64 v63, v[56:57], v[60:61] offset0:30 offset1:45
	v_pk_fma_f32 v[54:55], v[54:55], 0.5, v[192:193] op_sel_hi:[1,0,1] neg_lo:[1,0,0] neg_hi:[1,0,0]
	v_pk_add_f32 v[56:57], v[64:65], v[94:95] neg_lo:[0,1] neg_hi:[0,1]
	v_pk_add_f32 v[62:63], v[88:89], v[92:93] neg_lo:[0,1] neg_hi:[0,1]
	v_pk_fma_f32 v[60:61], v[56:57], s[6:7], v[54:55] op_sel:[1,0,0] op_sel_hi:[0,0,1]
	v_pk_fma_f32 v[54:55], v[56:57], s[6:7], v[54:55] op_sel:[1,0,0] op_sel_hi:[0,0,1] neg_lo:[1,0,0] neg_hi:[1,0,0]
	v_pk_add_f32 v[72:73], v[192:193], v[64:65]
	v_pk_fma_f32 v[54:55], v[62:63], s[8:9], v[54:55] op_sel:[1,0,0] op_sel_hi:[0,0,1] neg_lo:[1,0,0] neg_hi:[1,0,0]
	v_pk_fma_f32 v[60:61], v[62:63], s[8:9], v[60:61] op_sel:[1,0,0] op_sel_hi:[0,0,1]
	v_pk_add_f32 v[72:73], v[72:73], v[88:89]
	v_mov_b32_e32 v77, v55
	v_pk_add_f32 v[72:73], v[72:73], v[92:93]
	v_mov_b32_e32 v55, v61
	v_pk_add_f32 v[72:73], v[72:73], v[94:95]
	v_pk_fma_f32 v[54:55], v[52:53], s[2:3], v[54:55] op_sel_hi:[1,0,1]
	ds_write2_b64 v225, v[72:73], v[54:55] offset1:15
	v_pk_add_f32 v[54:55], v[88:89], v[64:65] neg_lo:[0,1] neg_hi:[0,1]
	v_pk_add_f32 v[64:65], v[64:65], v[94:95]
	v_pk_add_f32 v[72:73], v[92:93], v[94:95] neg_lo:[0,1] neg_hi:[0,1]
	v_pk_fma_f32 v[64:65], v[64:65], 0.5, v[192:193] op_sel_hi:[1,0,1] neg_lo:[1,0,0] neg_hi:[1,0,0]
	v_pk_add_f32 v[54:55], v[54:55], v[72:73]
	v_pk_fma_f32 v[72:73], v[62:63], s[6:7], v[64:65] op_sel:[1,0,0] op_sel_hi:[0,0,1] neg_lo:[1,0,0] neg_hi:[1,0,0]
	v_pk_fma_f32 v[62:63], v[62:63], s[6:7], v[64:65] op_sel:[1,0,0] op_sel_hi:[0,0,1]
	v_pk_fma_f32 v[62:63], v[56:57], s[8:9], v[62:63] op_sel:[1,0,0] op_sel_hi:[0,0,1] neg_lo:[1,0,0] neg_hi:[1,0,0]
	v_pk_fma_f32 v[56:57], v[56:57], s[8:9], v[72:73] op_sel:[1,0,0] op_sel_hi:[0,0,1]
	v_mov_b32_e32 v64, v56
	v_mov_b32_e32 v65, v63
	;; [unrolled: 1-line block ×4, first 2 shown]
	v_pk_fma_f32 v[56:57], v[54:55], s[2:3], v[64:65] op_sel_hi:[1,0,1]
	v_pk_fma_f32 v[54:55], v[54:55], s[2:3], v[62:63] op_sel_hi:[1,0,1]
	;; [unrolled: 1-line block ×3, first 2 shown]
	v_pk_fma_f32 v[38:39], v[38:39], 0.5, v[194:195] op_sel_hi:[1,0,1] neg_lo:[1,0,0] neg_hi:[1,0,0]
	ds_write2_b64 v225, v[54:55], v[56:57] offset0:30 offset1:45
	ds_write_b64 v225, v[52:53] offset:480
	v_pk_fma_f32 v[46:47], v[44:45], s[6:7], v[38:39] op_sel:[1,0,0] op_sel_hi:[0,0,1]
	v_pk_fma_f32 v[38:39], v[44:45], s[6:7], v[38:39] op_sel:[1,0,0] op_sel_hi:[0,0,1] neg_lo:[1,0,0] neg_hi:[1,0,0]
	v_pk_add_f32 v[52:53], v[2:3], v[40:41] neg_lo:[0,1] neg_hi:[0,1]
	v_pk_add_f32 v[54:55], v[194:195], v[34:35]
	v_pk_fma_f32 v[38:39], v[52:53], s[8:9], v[38:39] op_sel:[1,0,0] op_sel_hi:[0,0,1] neg_lo:[1,0,0] neg_hi:[1,0,0]
	v_pk_fma_f32 v[46:47], v[52:53], s[8:9], v[46:47] op_sel:[1,0,0] op_sel_hi:[0,0,1]
	v_pk_add_f32 v[54:55], v[54:55], v[2:3]
	v_mov_b32_e32 v57, v39
	v_pk_add_f32 v[54:55], v[54:55], v[40:41]
	v_mov_b32_e32 v39, v47
	v_pk_add_f32 v[54:55], v[54:55], v[42:43]
	v_pk_fma_f32 v[38:39], v[36:37], s[2:3], v[38:39] op_sel_hi:[1,0,1]
	ds_write2_b64 v67, v[54:55], v[38:39] offset1:15
	v_pk_add_f32 v[38:39], v[34:35], v[42:43]
	v_pk_add_f32 v[2:3], v[2:3], v[34:35] neg_lo:[0,1] neg_hi:[0,1]
	v_pk_fma_f32 v[38:39], v[38:39], 0.5, v[194:195] op_sel_hi:[1,0,1] neg_lo:[1,0,0] neg_hi:[1,0,0]
	v_pk_add_f32 v[34:35], v[40:41], v[42:43] neg_lo:[0,1] neg_hi:[0,1]
	v_mov_b32_e32 v56, v46
	v_pk_add_f32 v[2:3], v[2:3], v[34:35]
	v_pk_fma_f32 v[34:35], v[52:53], s[6:7], v[38:39] op_sel:[1,0,0] op_sel_hi:[0,0,1] neg_lo:[1,0,0] neg_hi:[1,0,0]
	v_pk_fma_f32 v[38:39], v[52:53], s[6:7], v[38:39] op_sel:[1,0,0] op_sel_hi:[0,0,1]
	v_pk_fma_f32 v[38:39], v[44:45], s[8:9], v[38:39] op_sel:[1,0,0] op_sel_hi:[0,0,1] neg_lo:[1,0,0] neg_hi:[1,0,0]
	v_pk_fma_f32 v[34:35], v[44:45], s[8:9], v[34:35] op_sel:[1,0,0] op_sel_hi:[0,0,1]
	v_mov_b32_e32 v40, v34
	v_mov_b32_e32 v41, v39
	;; [unrolled: 1-line block ×3, first 2 shown]
	v_pk_fma_f32 v[34:35], v[2:3], s[2:3], v[40:41] op_sel_hi:[1,0,1]
	v_pk_fma_f32 v[2:3], v[2:3], s[2:3], v[38:39] op_sel_hi:[1,0,1]
	ds_write2_b64 v67, v[2:3], v[34:35] offset0:30 offset1:45
	v_pk_fma_f32 v[2:3], v[36:37], s[2:3], v[56:57] op_sel_hi:[1,0,1]
	ds_write_b64 v67, v[2:3] offset:480
	v_pk_add_f32 v[2:3], v[18:19], v[20:21] neg_lo:[0,1] neg_hi:[0,1]
	v_pk_add_f32 v[34:35], v[84:85], v[18:19]
	v_pk_add_f32 v[2:3], v[2:3], v[26:27]
	;; [unrolled: 1-line block ×4, first 2 shown]
	v_pk_fma_f32 v[26:27], v[26:27], 0.5, v[84:85] op_sel_hi:[1,0,1] neg_lo:[1,0,0] neg_hi:[1,0,0]
	v_pk_add_f32 v[20:21], v[20:21], v[18:19] neg_lo:[0,1] neg_hi:[0,1]
	v_pk_fma_f32 v[30:31], v[28:29], s[6:7], v[26:27] op_sel:[1,0,0] op_sel_hi:[0,0,1]
	v_pk_fma_f32 v[26:27], v[28:29], s[6:7], v[26:27] op_sel:[1,0,0] op_sel_hi:[0,0,1] neg_lo:[1,0,0] neg_hi:[1,0,0]
	v_pk_fma_f32 v[26:27], v[32:33], s[8:9], v[26:27] op_sel:[1,0,0] op_sel_hi:[0,0,1] neg_lo:[1,0,0] neg_hi:[1,0,0]
	v_pk_fma_f32 v[30:31], v[32:33], s[8:9], v[30:31] op_sel:[1,0,0] op_sel_hi:[0,0,1]
	v_pk_add_f32 v[18:19], v[18:19], v[24:25]
	v_pk_add_f32 v[34:35], v[34:35], v[22:23]
	v_mov_b32_e32 v37, v27
	v_mov_b32_e32 v27, v31
	v_pk_add_f32 v[22:23], v[22:23], v[24:25] neg_lo:[0,1] neg_hi:[0,1]
	v_pk_fma_f32 v[18:19], v[18:19], 0.5, v[84:85] op_sel_hi:[1,0,1] neg_lo:[1,0,0] neg_hi:[1,0,0]
	v_mov_b32_e32 v36, v30
	v_pk_fma_f32 v[26:27], v[2:3], s[2:3], v[26:27] op_sel_hi:[1,0,1]
	v_pk_add_f32 v[20:21], v[20:21], v[22:23]
	v_pk_fma_f32 v[22:23], v[32:33], s[6:7], v[18:19] op_sel:[1,0,0] op_sel_hi:[0,0,1] neg_lo:[1,0,0] neg_hi:[1,0,0]
	v_pk_fma_f32 v[18:19], v[32:33], s[6:7], v[18:19] op_sel:[1,0,0] op_sel_hi:[0,0,1]
	v_pk_fma_f32 v[2:3], v[2:3], s[2:3], v[36:37] op_sel_hi:[1,0,1]
	v_mov_b32_e32 v1, v7
	v_pk_fma_f32 v[18:19], v[28:29], s[8:9], v[18:19] op_sel:[1,0,0] op_sel_hi:[0,0,1] neg_lo:[1,0,0] neg_hi:[1,0,0]
	v_pk_fma_f32 v[22:23], v[28:29], s[8:9], v[22:23] op_sel:[1,0,0] op_sel_hi:[0,0,1]
	ds_write_b64 v75, v[2:3] offset:480
	v_pk_add_f32 v[2:3], v[0:1], v[4:5] neg_lo:[0,1] neg_hi:[0,1]
	v_pk_add_f32 v[6:7], v[12:13], v[10:11] neg_lo:[0,1] neg_hi:[0,1]
	v_pk_add_f32 v[34:35], v[34:35], v[24:25]
	v_mov_b32_e32 v24, v22
	v_mov_b32_e32 v25, v19
	;; [unrolled: 1-line block ×3, first 2 shown]
	v_pk_add_f32 v[2:3], v[2:3], v[6:7]
	v_pk_add_f32 v[6:7], v[4:5], v[10:11]
	v_pk_fma_f32 v[22:23], v[20:21], s[2:3], v[24:25] op_sel_hi:[1,0,1]
	v_pk_fma_f32 v[18:19], v[20:21], s[2:3], v[18:19] op_sel_hi:[1,0,1]
	v_pk_fma_f32 v[6:7], v[6:7], 0.5, v[86:87] op_sel_hi:[1,0,1] neg_lo:[1,0,0] neg_hi:[1,0,0]
	v_pk_add_f32 v[8:9], v[0:1], v[12:13] neg_lo:[0,1] neg_hi:[0,1]
	ds_write2_b64 v75, v[18:19], v[22:23] offset0:30 offset1:45
	v_pk_fma_f32 v[14:15], v[8:9], s[6:7], v[6:7] op_sel:[1,0,0] op_sel_hi:[0,0,1]
	v_pk_fma_f32 v[6:7], v[8:9], s[6:7], v[6:7] op_sel:[1,0,0] op_sel_hi:[0,0,1] neg_lo:[1,0,0] neg_hi:[1,0,0]
	v_pk_add_f32 v[16:17], v[4:5], v[10:11] neg_lo:[0,1] neg_hi:[0,1]
	v_pk_add_f32 v[18:19], v[86:87], v[0:1]
	v_pk_fma_f32 v[6:7], v[16:17], s[8:9], v[6:7] op_sel:[1,0,0] op_sel_hi:[0,0,1] neg_lo:[1,0,0] neg_hi:[1,0,0]
	v_pk_fma_f32 v[14:15], v[16:17], s[8:9], v[14:15] op_sel:[1,0,0] op_sel_hi:[0,0,1]
	v_pk_add_f32 v[18:19], v[18:19], v[4:5]
	v_mov_b32_e32 v21, v7
	v_pk_add_f32 v[18:19], v[18:19], v[10:11]
	v_mov_b32_e32 v7, v15
	v_pk_add_f32 v[18:19], v[18:19], v[12:13]
	v_pk_fma_f32 v[6:7], v[2:3], s[2:3], v[6:7] op_sel_hi:[1,0,1]
	ds_write2_b64 v75, v[34:35], v[26:27] offset1:15
	ds_write2_b64 v79, v[18:19], v[6:7] offset1:15
	v_pk_add_f32 v[6:7], v[0:1], v[12:13]
	v_pk_add_f32 v[0:1], v[4:5], v[0:1] neg_lo:[0,1] neg_hi:[0,1]
	v_pk_fma_f32 v[6:7], v[6:7], 0.5, v[86:87] op_sel_hi:[1,0,1] neg_lo:[1,0,0] neg_hi:[1,0,0]
	v_pk_add_f32 v[4:5], v[10:11], v[12:13] neg_lo:[0,1] neg_hi:[0,1]
	v_mov_b32_e32 v20, v14
	v_pk_add_f32 v[0:1], v[0:1], v[4:5]
	v_pk_fma_f32 v[4:5], v[16:17], s[6:7], v[6:7] op_sel:[1,0,0] op_sel_hi:[0,0,1] neg_lo:[1,0,0] neg_hi:[1,0,0]
	v_pk_fma_f32 v[6:7], v[16:17], s[6:7], v[6:7] op_sel:[1,0,0] op_sel_hi:[0,0,1]
	v_pk_fma_f32 v[6:7], v[8:9], s[8:9], v[6:7] op_sel:[1,0,0] op_sel_hi:[0,0,1] neg_lo:[1,0,0] neg_hi:[1,0,0]
	v_pk_fma_f32 v[4:5], v[8:9], s[8:9], v[4:5] op_sel:[1,0,0] op_sel_hi:[0,0,1]
	v_mov_b32_e32 v8, v4
	v_mov_b32_e32 v9, v7
	;; [unrolled: 1-line block ×3, first 2 shown]
	v_pk_fma_f32 v[4:5], v[0:1], s[2:3], v[8:9] op_sel_hi:[1,0,1]
	v_pk_fma_f32 v[0:1], v[0:1], s[2:3], v[6:7] op_sel_hi:[1,0,1]
	ds_write2_b64 v79, v[0:1], v[4:5] offset0:30 offset1:45
	v_pk_fma_f32 v[0:1], v[2:3], s[2:3], v[20:21] op_sel_hi:[1,0,1]
	ds_write_b64 v79, v[0:1] offset:480
	s_waitcnt lgkmcnt(0)
	s_barrier
	ds_read2_b64 v[0:3], v115 offset0:44 offset1:169
	v_accvgpr_read_b32 v8, a238
	v_accvgpr_read_b32 v9, a239
	s_mov_b32 s12, 0xbf4f1bbd
	s_mov_b32 s13, s8
	s_waitcnt lgkmcnt(0)
	v_pk_mul_f32 v[4:5], v[8:9], v[2:3] op_sel:[1,0]
	s_nop 0
	v_pk_fma_f32 v[6:7], v[8:9], v[2:3], v[4:5] op_sel:[0,0,1] op_sel_hi:[1,1,0]
	v_pk_fma_f32 v[22:23], v[8:9], v[2:3], v[4:5] op_sel:[0,0,1] op_sel_hi:[0,1,0] neg_lo:[0,0,1] neg_hi:[0,0,1]
	v_accvgpr_read_b32 v4, a236
	v_accvgpr_read_b32 v5, a237
	v_pk_mul_f32 v[2:3], v[4:5], v[0:1] op_sel:[1,0]
	v_accvgpr_read_b32 v8, a234
	v_pk_fma_f32 v[10:11], v[4:5], v[0:1], v[2:3] op_sel:[0,0,1] op_sel_hi:[1,1,0]
	v_pk_fma_f32 v[44:45], v[4:5], v[0:1], v[2:3] op_sel:[0,0,1] op_sel_hi:[0,1,0] neg_lo:[0,0,1] neg_hi:[0,0,1]
	ds_read2_b64 v[0:3], v123 offset0:50 offset1:175
	v_accvgpr_read_b32 v9, a235
	s_waitcnt lgkmcnt(0)
	v_pk_mul_f32 v[4:5], v[8:9], v[2:3] op_sel:[1,0]
	s_nop 0
	v_pk_fma_f32 v[76:77], v[8:9], v[2:3], v[4:5] op_sel:[0,0,1] op_sel_hi:[1,1,0]
	v_pk_fma_f32 v[72:73], v[8:9], v[2:3], v[4:5] op_sel:[0,0,1] op_sel_hi:[0,1,0] neg_lo:[0,0,1] neg_hi:[0,0,1]
	v_accvgpr_read_b32 v2, a232
	v_pk_mul_f32 v[2:3], v[2:3], v[0:1] op_sel_hi:[0,1]
	v_pk_fma_f32 v[8:9], v[170:171], v[0:1], v[2:3] op_sel:[0,0,1] op_sel_hi:[1,1,0]
	v_pk_fma_f32 v[4:5], v[170:171], v[0:1], v[2:3] op_sel:[0,0,1] op_sel_hi:[0,1,0] neg_lo:[0,0,1] neg_hi:[0,0,1]
	ds_read2_b64 v[0:3], v155 offset0:62 offset1:187
	v_accvgpr_read_b32 v4, a228
	v_mov_b32_e32 v9, v5
	v_mov_b32_e32 v77, v73
	s_waitcnt lgkmcnt(0)
	v_pk_mul_f32 v[12:13], v[168:169], v[2:3] op_sel:[1,0]
	s_nop 0
	v_pk_fma_f32 v[20:21], v[168:169], v[2:3], v[12:13] op_sel:[0,0,1] op_sel_hi:[1,1,0]
	v_pk_fma_f32 v[84:85], v[168:169], v[2:3], v[12:13] op_sel:[0,0,1] op_sel_hi:[0,1,0] neg_lo:[0,0,1] neg_hi:[0,0,1]
	v_pk_mul_f32 v[2:3], v[172:173], v[0:1] op_sel:[1,0]
	v_mov_b32_e32 v21, v85
	v_pk_fma_f32 v[52:53], v[172:173], v[0:1], v[2:3] op_sel:[0,0,1] op_sel_hi:[1,1,0]
	v_pk_fma_f32 v[78:79], v[172:173], v[0:1], v[2:3] op_sel:[0,0,1] op_sel_hi:[0,1,0] neg_lo:[0,0,1] neg_hi:[0,0,1]
	ds_read2_b64 v[0:3], v131 offset0:56 offset1:181
	v_mov_b32_e32 v53, v79
	s_waitcnt lgkmcnt(0)
	v_pk_mul_f32 v[12:13], v[4:5], v[2:3] op_sel_hi:[0,1]
	v_pk_fma_f32 v[32:33], v[174:175], v[2:3], v[12:13] op_sel:[0,0,1] op_sel_hi:[1,1,0]
	v_pk_fma_f32 v[54:55], v[174:175], v[2:3], v[12:13] op_sel:[0,0,1] op_sel_hi:[0,1,0] neg_lo:[0,0,1] neg_hi:[0,0,1]
	v_accvgpr_read_b32 v2, a230
	v_pk_mul_f32 v[2:3], v[2:3], v[0:1] op_sel_hi:[0,1]
	v_pk_fma_f32 v[74:75], v[190:191], v[0:1], v[2:3] op_sel:[0,0,1] op_sel_hi:[1,1,0]
	v_pk_fma_f32 v[38:39], v[190:191], v[0:1], v[2:3] op_sel:[0,0,1] op_sel_hi:[0,1,0] neg_lo:[0,0,1] neg_hi:[0,0,1]
	ds_read2_b64 v[0:3], v51 offset0:68 offset1:193
	v_accvgpr_read_b32 v4, a216
	v_mov_b32_e32 v75, v39
	s_waitcnt lgkmcnt(0)
	v_pk_mul_f32 v[12:13], v[188:189], v[2:3] op_sel:[1,0]
	s_nop 0
	v_pk_fma_f32 v[46:47], v[188:189], v[2:3], v[12:13] op_sel:[0,0,1] op_sel_hi:[1,1,0]
	v_pk_fma_f32 v[80:81], v[188:189], v[2:3], v[12:13] op_sel:[0,0,1] op_sel_hi:[0,1,0] neg_lo:[0,0,1] neg_hi:[0,0,1]
	v_accvgpr_read_b32 v2, a222
	v_pk_mul_f32 v[2:3], v[2:3], v[0:1] op_sel_hi:[0,1]
	v_pk_fma_f32 v[12:13], v[162:163], v[0:1], v[2:3] op_sel:[0,0,1] op_sel_hi:[1,1,0]
	v_pk_fma_f32 v[30:31], v[162:163], v[0:1], v[2:3] op_sel:[0,0,1] op_sel_hi:[0,1,0] neg_lo:[0,0,1] neg_hi:[0,0,1]
	ds_read2_b64 v[0:3], v127 offset0:80 offset1:205
	v_mov_b32_e32 v13, v31
	v_mov_b32_e32 v47, v81
	s_waitcnt lgkmcnt(0)
	v_pk_mul_f32 v[14:15], v[160:161], v[2:3] op_sel:[1,0]
	s_nop 0
	v_pk_fma_f32 v[28:29], v[160:161], v[2:3], v[14:15] op_sel:[0,0,1] op_sel_hi:[1,1,0]
	v_pk_fma_f32 v[90:91], v[160:161], v[2:3], v[14:15] op_sel:[0,0,1] op_sel_hi:[0,1,0] neg_lo:[0,0,1] neg_hi:[0,0,1]
	v_pk_mul_f32 v[2:3], v[148:149], v[0:1] op_sel:[1,0]
	v_mov_b32_e32 v84, v91
	v_pk_fma_f32 v[58:59], v[148:149], v[0:1], v[2:3] op_sel:[0,0,1] op_sel_hi:[1,1,0]
	v_pk_fma_f32 v[86:87], v[148:149], v[0:1], v[2:3] op_sel:[0,0,1] op_sel_hi:[0,1,0] neg_lo:[0,0,1] neg_hi:[0,0,1]
	ds_read2_b64 v[0:3], v111 offset0:74 offset1:199
	v_mov_b32_e32 v29, v91
	v_mov_b32_e32 v78, v87
	;; [unrolled: 1-line block ×3, first 2 shown]
	s_waitcnt lgkmcnt(0)
	v_pk_mul_f32 v[14:15], v[4:5], v[2:3] op_sel_hi:[0,1]
	v_pk_fma_f32 v[34:35], v[150:151], v[2:3], v[14:15] op_sel:[0,0,1] op_sel_hi:[1,1,0]
	v_pk_fma_f32 v[60:61], v[150:151], v[2:3], v[14:15] op_sel:[0,0,1] op_sel_hi:[0,1,0] neg_lo:[0,0,1] neg_hi:[0,0,1]
	v_accvgpr_read_b32 v2, a218
	v_pk_mul_f32 v[2:3], v[2:3], v[0:1] op_sel_hi:[0,1]
	v_pk_fma_f32 v[82:83], v[178:179], v[0:1], v[2:3] op_sel:[0,0,1] op_sel_hi:[1,1,0]
	v_pk_fma_f32 v[62:63], v[178:179], v[0:1], v[2:3] op_sel:[0,0,1] op_sel_hi:[0,1,0] neg_lo:[0,0,1] neg_hi:[0,0,1]
	ds_read2_b64 v[0:3], v135 offset0:86 offset1:211
	v_accvgpr_read_b32 v4, a198
	v_mov_b32_e32 v83, v63
	s_waitcnt lgkmcnt(0)
	v_pk_mul_f32 v[14:15], v[176:177], v[2:3] op_sel:[1,0]
	s_nop 0
	v_pk_fma_f32 v[64:65], v[176:177], v[2:3], v[14:15] op_sel:[0,0,1] op_sel_hi:[1,1,0]
	v_pk_fma_f32 v[92:93], v[176:177], v[2:3], v[14:15] op_sel:[0,0,1] op_sel_hi:[0,1,0] neg_lo:[0,0,1] neg_hi:[0,0,1]
	v_accvgpr_read_b32 v2, a208
	v_pk_mul_f32 v[2:3], v[2:3], v[0:1] op_sel_hi:[0,1]
	v_pk_fma_f32 v[14:15], v[70:71], v[0:1], v[2:3] op_sel:[0,0,1] op_sel_hi:[1,1,0]
	v_pk_fma_f32 v[94:95], v[70:71], v[0:1], v[2:3] op_sel:[0,0,1] op_sel_hi:[0,1,0] neg_lo:[0,0,1] neg_hi:[0,0,1]
	ds_read2_b64 v[0:3], v71 offset0:98 offset1:223
	v_mov_b32_e32 v15, v95
	v_mov_b32_e32 v95, v76
	;; [unrolled: 1-line block ×4, first 2 shown]
	s_waitcnt lgkmcnt(0)
	v_pk_mul_f32 v[18:19], v[68:69], v[2:3] op_sel:[1,0]
	v_pk_add_f32 v[38:39], v[64:65], v[46:47]
	v_pk_fma_f32 v[16:17], v[68:69], v[2:3], v[18:19] op_sel:[0,0,1] op_sel_hi:[1,1,0]
	v_pk_fma_f32 v[98:99], v[68:69], v[2:3], v[18:19] op_sel:[0,0,1] op_sel_hi:[0,1,0] neg_lo:[0,0,1] neg_hi:[0,0,1]
	v_pk_mul_f32 v[2:3], v[136:137], v[0:1] op_sel:[1,0]
	v_mov_b32_e32 v17, v99
	v_pk_fma_f32 v[42:43], v[136:137], v[0:1], v[2:3] op_sel:[0,0,1] op_sel_hi:[1,1,0]
	v_pk_fma_f32 v[104:105], v[136:137], v[0:1], v[2:3] op_sel:[0,0,1] op_sel_hi:[0,1,0] neg_lo:[0,0,1] neg_hi:[0,0,1]
	ds_read2_b64 v[0:3], v167 offset0:92 offset1:217
	v_mov_b32_e32 v98, v58
	v_mov_b32_e32 v44, v105
	;; [unrolled: 1-line block ×3, first 2 shown]
	s_waitcnt lgkmcnt(0)
	v_pk_mul_f32 v[18:19], v[4:5], v[2:3] op_sel_hi:[0,1]
	v_pk_fma_f32 v[40:41], v[138:139], v[2:3], v[18:19] op_sel:[0,0,1] op_sel_hi:[1,1,0]
	v_pk_fma_f32 v[66:67], v[138:139], v[2:3], v[18:19] op_sel:[0,0,1] op_sel_hi:[0,1,0] neg_lo:[0,0,1] neg_hi:[0,0,1]
	v_accvgpr_read_b32 v2, a200
	v_pk_mul_f32 v[2:3], v[2:3], v[0:1] op_sel_hi:[0,1]
	v_pk_fma_f32 v[88:89], v[158:159], v[0:1], v[2:3] op_sel:[0,0,1] op_sel_hi:[1,1,0]
	v_pk_fma_f32 v[136:137], v[158:159], v[0:1], v[2:3] op_sel:[0,0,1] op_sel_hi:[0,1,0] neg_lo:[0,0,1] neg_hi:[0,0,1]
	ds_read2_b64 v[0:3], v97 offset0:104 offset1:229
	v_accvgpr_read_b32 v4, a190
	v_mov_b32_e32 v89, v137
	v_mov_b32_e32 v136, v64
	;; [unrolled: 1-line block ×3, first 2 shown]
	s_waitcnt lgkmcnt(0)
	v_pk_mul_f32 v[18:19], v[156:157], v[2:3] op_sel:[1,0]
	v_pk_add_f32 v[194:195], v[88:89], v[82:83] neg_lo:[0,1] neg_hi:[0,1]
	v_pk_fma_f32 v[148:149], v[156:157], v[2:3], v[18:19] op_sel:[0,0,1] op_sel_hi:[1,1,0]
	v_pk_fma_f32 v[156:157], v[156:157], v[2:3], v[18:19] op_sel:[0,0,1] op_sel_hi:[0,1,0] neg_lo:[0,0,1] neg_hi:[0,0,1]
	v_accvgpr_read_b32 v2, a194
	v_pk_mul_f32 v[2:3], v[2:3], v[0:1] op_sel_hi:[0,1]
	v_pk_fma_f32 v[18:19], v[50:51], v[0:1], v[2:3] op_sel:[0,0,1] op_sel_hi:[1,1,0]
	v_pk_fma_f32 v[160:161], v[50:51], v[0:1], v[2:3] op_sel:[0,0,1] op_sel_hi:[0,1,0] neg_lo:[0,0,1] neg_hi:[0,0,1]
	ds_read2_b64 v[0:3], v147 offset0:116 offset1:241
	v_mov_b32_e32 v19, v161
	v_mov_b32_e32 v94, v148
	;; [unrolled: 1-line block ×4, first 2 shown]
	s_waitcnt lgkmcnt(0)
	v_pk_mul_f32 v[24:25], v[48:49], v[2:3] op_sel:[1,0]
	v_pk_add_f32 v[160:161], v[64:65], v[46:47] neg_lo:[0,1] neg_hi:[0,1]
	v_pk_fma_f32 v[26:27], v[48:49], v[2:3], v[24:25] op_sel:[0,0,1] op_sel_hi:[0,1,0]
	v_pk_fma_f32 v[24:25], v[48:49], v[2:3], v[24:25] op_sel:[0,0,1] op_sel_hi:[0,1,0] neg_lo:[0,0,1] neg_hi:[0,0,1]
	v_pk_mul_f32 v[2:3], v[116:117], v[0:1] op_sel:[1,0]
	s_nop 0
	v_pk_fma_f32 v[56:57], v[116:117], v[0:1], v[2:3] op_sel:[0,0,1] op_sel_hi:[0,1,0]
	v_pk_fma_f32 v[36:37], v[116:117], v[0:1], v[2:3] op_sel:[0,0,1] op_sel_hi:[0,1,0] neg_lo:[0,0,1] neg_hi:[0,0,1]
	ds_read2_b64 v[0:3], v103 offset0:110 offset1:235
	v_mov_b32_e32 v57, v37
	s_waitcnt lgkmcnt(0)
	v_pk_mul_f32 v[48:49], v[4:5], v[2:3] op_sel_hi:[0,1]
	v_pk_fma_f32 v[50:51], v[118:119], v[2:3], v[48:49] op_sel:[0,0,1] op_sel_hi:[1,1,0]
	v_pk_fma_f32 v[68:69], v[118:119], v[2:3], v[48:49] op_sel:[0,0,1] op_sel_hi:[0,1,0] neg_lo:[0,0,1] neg_hi:[0,0,1]
	v_accvgpr_read_b32 v2, a192
	v_pk_mul_f32 v[2:3], v[2:3], v[0:1] op_sel_hi:[0,1]
	v_pk_fma_f32 v[116:117], v[142:143], v[0:1], v[2:3] op_sel:[0,0,1] op_sel_hi:[1,1,0]
	v_pk_fma_f32 v[48:49], v[142:143], v[0:1], v[2:3] op_sel:[0,0,1] op_sel_hi:[0,1,0] neg_lo:[0,0,1] neg_hi:[0,0,1]
	ds_read2_b64 v[0:3], v254 offset0:122 offset1:247
	v_pk_add_f32 v[4:5], v[8:9], v[12:13] neg_lo:[0,1] neg_hi:[0,1]
	v_mov_b32_e32 v117, v49
	v_pk_add_f32 v[176:177], v[116:117], v[74:75] neg_lo:[0,1] neg_hi:[0,1]
	v_mov_b32_e32 v51, v69
	s_waitcnt lgkmcnt(0)
	v_pk_mul_f32 v[70:71], v[140:141], v[2:3] op_sel:[1,0]
	v_pk_mul_f32 v[48:49], v[176:177], s[6:7] op_sel_hi:[1,0]
	v_pk_fma_f32 v[168:169], v[140:141], v[2:3], v[70:71] op_sel:[0,0,1] op_sel_hi:[0,1,0]
	v_pk_fma_f32 v[70:71], v[140:141], v[2:3], v[70:71] op_sel:[0,0,1] op_sel_hi:[0,1,0] neg_lo:[0,0,1] neg_hi:[0,0,1]
	v_pk_add_f32 v[2:3], v[18:19], v[14:15] neg_lo:[0,1] neg_hi:[0,1]
	v_mov_b32_e32 v169, v71
	v_pk_add_f32 v[30:31], v[2:3], v[4:5]
	v_pk_add_f32 v[2:3], v[94:95], v[136:137] neg_lo:[0,1] neg_hi:[0,1]
	v_fma_f32 v27, -0.5, v38, v168
	v_mov_b32_e32 v4, v3
	v_pk_add_f32 v[140:141], v[2:3], v[4:5]
	v_pk_add_f32 v[2:3], v[168:169], v[148:149]
	v_fma_f32 v33, -0.5, v39, v71
	v_pk_add_f32 v[2:3], v[2:3], v[64:65]
	v_mov_b32_e32 v141, v161
	v_pk_add_f32 v[172:173], v[2:3], v[46:47]
	v_pk_add_f32 v[2:3], v[72:73], v[80:81] neg_lo:[0,1] neg_hi:[0,1]
	v_pk_add_f32 v[46:47], v[88:89], v[82:83]
	v_mov_b32_e32 v4, v3
	v_pk_add_f32 v[92:93], v[2:3], v[4:5]
	v_pk_add_f32 v[2:3], v[116:117], v[88:89] neg_lo:[0,1] neg_hi:[0,1]
	v_pk_add_f32 v[4:5], v[74:75], v[82:83] neg_lo:[0,1] neg_hi:[0,1]
	v_mov_b32_e32 v93, v160
	v_pk_add_f32 v[156:157], v[2:3], v[4:5]
	ds_read2_b64 v[2:5], v96 offset1:125
	v_pk_add_f32 v[172:173], v[172:173], v[76:77]
	s_waitcnt lgkmcnt(0)
	s_barrier
	v_pk_fma_f32 v[46:47], v[46:47], 0.5, v[2:3] op_sel_hi:[1,0,1] neg_lo:[1,0,0] neg_hi:[1,0,0]
	v_mov_b32_e32 v35, v168
	v_pk_add_f32 v[188:189], v[46:47], v[48:49] op_sel:[0,1] op_sel_hi:[1,0] neg_lo:[0,1] neg_hi:[0,1]
	v_pk_add_f32 v[192:193], v[46:47], v[48:49] op_sel:[0,1] op_sel_hi:[1,0]
	v_pk_add_f32 v[46:47], v[14:15], v[12:13]
	s_nop 0
	v_pk_fma_f32 v[48:49], v[46:47], 0.5, v[0:1] op_sel_hi:[1,0,1] neg_lo:[1,0,0] neg_hi:[1,0,0]
	v_pk_add_f32 v[46:47], v[18:19], v[8:9] neg_lo:[0,1] neg_hi:[0,1]
	s_nop 0
	v_pk_fma_f32 v[64:65], v[46:47], s[6:7], v[48:49] op_sel:[1,0,0] op_sel_hi:[0,0,1]
	v_pk_fma_f32 v[62:63], v[46:47], s[6:7], v[48:49] op_sel:[1,0,0] op_sel_hi:[0,0,1] neg_lo:[1,0,0] neg_hi:[1,0,0]
	v_pk_add_f32 v[48:49], v[14:15], v[12:13] neg_lo:[0,1] neg_hi:[0,1]
	s_mov_b32 s7, s2
	v_pk_fma_f32 v[62:63], v[48:49], s[8:9], v[62:63] op_sel:[1,0,0] op_sel_hi:[0,0,1] neg_lo:[1,0,0] neg_hi:[1,0,0]
	v_pk_fma_f32 v[64:65], v[48:49], s[8:9], v[64:65] op_sel:[1,0,0] op_sel_hi:[0,0,1]
	s_mov_b32 s9, s14
	v_pk_mul_f32 v[196:197], v[194:195], s[8:9] op_sel_hi:[1,0]
	v_mov_b32_e32 v38, v64
	v_mov_b32_e32 v39, v63
	v_pk_add_f32 v[192:193], v[192:193], v[196:197] op_sel:[0,1] op_sel_hi:[1,0]
	v_pk_add_f32 v[188:189], v[188:189], v[196:197] op_sel:[0,1] op_sel_hi:[1,0] neg_lo:[0,1] neg_hi:[0,1]
	v_pk_fma_f32 v[38:39], v[30:31], s[2:3], v[38:39] op_sel_hi:[1,0,1]
	s_mov_b32 s3, s8
	v_pk_add_f32 v[196:197], v[148:149], v[76:77] neg_lo:[0,1] neg_hi:[0,1]
	v_pk_mul_f32 v[92:93], v[92:93], s[2:3]
	v_fmamk_f32 v11, v196, 0x3f737871, v33
	v_pk_mul_f32 v[140:141], v[140:141], s[2:3]
	v_fmamk_f32 v7, v197, 0xbf737871, v27
	v_add_f32_e32 v11, v93, v11
	v_sub_f32_e32 v7, v7, v141
	v_add_f32_e32 v22, v92, v11
	v_pk_mul_f32 v[198:199], v[22:23], s[8:9] op_sel_hi:[0,1]
	v_add_f32_e32 v22, v140, v7
	v_pk_fma_f32 v[200:201], v[22:23], s[14:15], v[198:199] neg_lo:[0,0,1] neg_hi:[0,0,1]
	v_pk_fma_f32 v[198:199], v[22:23], s[14:15], v[198:199] op_sel_hi:[0,1,1]
	v_mov_b32_e32 v201, v199
	v_pk_add_f32 v[198:199], v[2:3], v[116:117]
	v_mov_b32_e32 v202, v188
	v_pk_add_f32 v[198:199], v[198:199], v[88:89]
	;; [unrolled: 2-line block ×3, first 2 shown]
	v_pk_fma_f32 v[202:203], v[156:157], s[2:3], v[202:203] op_sel_hi:[1,0,1]
	v_pk_add_f32 v[198:199], v[198:199], v[74:75]
	v_pk_add_f32 v[206:207], v[202:203], v[200:201]
	;; [unrolled: 1-line block ×3, first 2 shown]
	ds_write2_b64 v191, v[204:205], v[206:207] offset1:75
	v_mov_b32_e32 v204, v16
	v_mov_b32_e32 v205, v6
	;; [unrolled: 1-line block ×4, first 2 shown]
	v_pk_add_f32 v[208:209], v[204:205], v[206:207] neg_lo:[0,1] neg_hi:[0,1]
	v_pk_add_f32 v[204:205], v[206:207], v[204:205] neg_lo:[0,1] neg_hi:[0,1]
	v_mov_b32_e32 v22, v209
	v_pk_add_f32 v[208:209], v[208:209], v[22:23]
	v_mov_b32_e32 v22, v205
	v_pk_add_f32 v[204:205], v[204:205], v[22:23]
	v_mov_b32_e32 v22, v99
	v_pk_add_f32 v[90:91], v[22:23], v[84:85] neg_lo:[0,1] neg_hi:[0,1]
	v_mov_b32_e32 v7, v23
	v_mov_b32_e32 v24, v91
	v_pk_add_f32 v[22:23], v[84:85], v[22:23] neg_lo:[0,1] neg_hi:[0,1]
	v_pk_add_f32 v[90:91], v[90:91], v[24:25]
	v_mov_b32_e32 v24, v23
	v_pk_add_f32 v[84:85], v[22:23], v[24:25]
	v_mov_b32_e32 v22, v42
	v_mov_b32_e32 v23, v10
	;; [unrolled: 1-line block ×3, first 2 shown]
	v_pk_add_f32 v[206:207], v[22:23], v[98:99] neg_lo:[0,1] neg_hi:[0,1]
	v_pk_add_f32 v[22:23], v[98:99], v[22:23] neg_lo:[0,1] neg_hi:[0,1]
	v_mov_b32_e32 v24, v207
	v_pk_add_f32 v[206:207], v[206:207], v[24:25]
	v_mov_b32_e32 v24, v23
	v_pk_add_f32 v[98:99], v[22:23], v[24:25]
	v_pk_add_f32 v[22:23], v[44:45], v[78:79] neg_lo:[0,1] neg_hi:[0,1]
	v_mov_b32_e32 v11, v45
	v_mov_b32_e32 v24, v23
	v_pk_add_f32 v[86:87], v[22:23], v[24:25]
	v_pk_add_f32 v[22:23], v[78:79], v[44:45] neg_lo:[0,1] neg_hi:[0,1]
	v_pk_add_f32 v[44:45], v[136:137], v[94:95] neg_lo:[0,1] neg_hi:[0,1]
	v_mov_b32_e32 v24, v23
	v_pk_add_f32 v[78:79], v[22:23], v[24:25]
	v_pk_add_f32 v[22:23], v[148:149], v[76:77]
	v_mov_b32_e32 v24, v45
	v_fmac_f32_e32 v35, -0.5, v22
	v_fmac_f32_e32 v71, -0.5, v23
	v_pk_add_f32 v[22:23], v[80:81], v[72:73] neg_lo:[0,1] neg_hi:[0,1]
	v_pk_add_f32 v[76:77], v[44:45], v[24:25]
	v_mov_b32_e32 v24, v23
	v_pk_add_f32 v[80:81], v[22:23], v[24:25]
	v_pk_add_f32 v[94:95], v[16:17], v[6:7] neg_lo:[0,1] neg_hi:[0,1]
	v_mov_b32_e32 v77, v197
	v_mov_b32_e32 v81, v196
	v_fmamk_f32 v24, v161, 0x3f737871, v35
	v_fmamk_f32 v36, v160, 0xbf737871, v71
	v_pk_add_f32 v[22:23], v[88:89], v[116:117] neg_lo:[0,1] neg_hi:[0,1]
	v_pk_add_f32 v[44:45], v[82:83], v[74:75] neg_lo:[0,1] neg_hi:[0,1]
	v_mov_b32_e32 v85, v94
	v_pk_mul_f32 v[76:77], v[76:77], s[2:3]
	v_pk_mul_f32 v[80:81], v[80:81], s[2:3]
	v_pk_add_f32 v[88:89], v[116:117], v[74:75]
	v_pk_add_f32 v[82:83], v[22:23], v[44:45]
	v_pk_add_f32 v[72:73], v[28:29], v[20:21] neg_lo:[0,1] neg_hi:[0,1]
	v_pk_mul_f32 v[44:45], v[84:85], s[2:3]
	v_pk_add_f32 v[84:85], v[58:59], v[52:53] neg_lo:[0,1] neg_hi:[0,1]
	v_pk_add_f32 v[116:117], v[42:43], v[10:11] neg_lo:[0,1] neg_hi:[0,1]
	v_sub_f32_e32 v41, v24, v77
	v_add_f32_e32 v24, v81, v36
	v_mov_b32_e32 v209, v73
	v_mov_b32_e32 v205, v95
	;; [unrolled: 1-line block ×7, first 2 shown]
	v_add_f32_e32 v24, v80, v24
	v_pk_mul_f32 v[74:75], v[208:209], s[2:3]
	v_pk_mul_f32 v[22:23], v[204:205], s[2:3]
	;; [unrolled: 1-line block ×7, first 2 shown]
	s_mov_b32 s3, s6
	v_pk_mul_f32 v[136:137], v[24:25], s[6:7] op_sel_hi:[0,1]
	v_add_f32_e32 v24, v76, v41
	v_fmac_f32_e32 v35, 0xbf737871, v161
	v_fmac_f32_e32 v71, 0x3f737871, v160
	v_pk_fma_f32 v[148:149], v[24:25], s[2:3], v[136:137] neg_lo:[0,0,1] neg_hi:[0,0,1]
	v_pk_fma_f32 v[136:137], v[24:25], s[2:3], v[136:137] op_sel_hi:[0,1,1]
	v_pk_fma_f32 v[2:3], v[88:89], 0.5, v[2:3] op_sel_hi:[1,0,1] neg_lo:[1,0,0] neg_hi:[1,0,0]
	v_pk_mul_f32 v[88:89], v[194:195], s[6:7] op_sel_hi:[1,0]
	v_mov_b32_e32 v149, v137
	v_pk_add_f32 v[136:137], v[2:3], v[88:89] op_sel:[0,1] op_sel_hi:[1,0]
	v_pk_add_f32 v[2:3], v[2:3], v[88:89] op_sel:[0,1] op_sel_hi:[1,0] neg_lo:[0,1] neg_hi:[0,1]
	v_pk_mul_f32 v[88:89], v[176:177], s[8:9] op_sel_hi:[1,0]
	v_add_f32_e32 v24, v77, v35
	v_sub_f32_e32 v35, v71, v81
	v_pk_add_f32 v[2:3], v[2:3], v[88:89] op_sel:[0,1] op_sel_hi:[1,0]
	v_pk_add_f32 v[88:89], v[136:137], v[88:89] op_sel:[0,1] op_sel_hi:[1,0] neg_lo:[0,1] neg_hi:[0,1]
	v_add_f32_e32 v36, v80, v35
	v_add_f32_e32 v24, v76, v24
	v_pk_mul_f32 v[70:71], v[36:37], s[6:7] op_sel_hi:[0,1]
	v_mov_b32_e32 v76, v88
	v_mov_b32_e32 v77, v3
	;; [unrolled: 1-line block ×3, first 2 shown]
	v_fmac_f32_e32 v27, 0x3f737871, v197
	v_fmac_f32_e32 v33, 0xbf737871, v196
	v_pk_fma_f32 v[70:71], v[24:25], s[10:11], v[70:71] op_sel_hi:[0,1,1] neg_lo:[0,0,1] neg_hi:[0,0,1]
	v_pk_fma_f32 v[76:77], v[82:83], s[2:3], v[76:77] op_sel_hi:[1,0,1]
	v_pk_fma_f32 v[2:3], v[82:83], s[2:3], v[2:3] op_sel_hi:[1,0,1]
	v_add_f32_e32 v24, v141, v27
	v_sub_f32_e32 v27, v33, v93
	v_pk_add_f32 v[80:81], v[76:77], v[148:149]
	v_pk_add_f32 v[82:83], v[2:3], v[70:71]
	v_add_f32_e32 v36, v92, v27
	ds_write2_b64 v191, v[80:81], v[82:83] offset0:150 offset1:225
	v_add_f32_e32 v24, v140, v24
	v_pk_mul_f32 v[80:81], v[36:37], s[8:9] op_sel_hi:[0,1]
	v_mov_b32_e32 v193, v189
	v_pk_fma_f32 v[80:81], v[24:25], s[12:13], v[80:81] op_sel_hi:[0,1,1] neg_lo:[0,0,1] neg_hi:[0,0,1]
	v_pk_fma_f32 v[82:83], v[156:157], s[2:3], v[192:193] op_sel_hi:[1,0,1]
	v_pk_add_f32 v[2:3], v[2:3], v[70:71] neg_lo:[0,1] neg_hi:[0,1]
	v_pk_add_f32 v[70:71], v[82:83], v[80:81] neg_lo:[0,1] neg_hi:[0,1]
	ds_write2_b64 v139, v[2:3], v[70:71] offset0:88 offset1:163
	v_mov_b32_e32 v33, v55
	v_pk_add_f32 v[2:3], v[56:57], v[42:43]
	v_pk_add_f32 v[54:55], v[58:59], v[52:53]
	v_pk_add_f32 v[88:89], v[198:199], v[172:173] neg_lo:[0,1] neg_hi:[0,1]
	v_pk_add_f32 v[92:93], v[82:83], v[80:81]
	v_accvgpr_read_b32 v24, a101
	v_mov_b32_e32 v41, v67
	v_mov_b32_e32 v35, v61
	v_pk_add_f32 v[2:3], v[2:3], v[58:59]
	v_fma_f32 v27, -0.5, v54, v56
	ds_write2_b64 v24, v[92:93], v[88:89] offset0:44 offset1:119
	v_pk_add_f32 v[2:3], v[2:3], v[52:53]
	v_pk_add_f32 v[52:53], v[50:51], v[40:41] neg_lo:[0,1] neg_hi:[0,1]
	v_pk_add_f32 v[58:59], v[32:33], v[34:35] neg_lo:[0,1] neg_hi:[0,1]
	v_fma_f32 v57, -0.5, v55, v37
	v_fmamk_f32 v24, v117, 0xbf737871, v27
	v_pk_add_f32 v[52:53], v[52:53], v[58:59]
	v_pk_add_f32 v[58:59], v[40:41], v[34:35]
	v_pk_add_f32 v[60:61], v[50:51], v[32:33] neg_lo:[0,1] neg_hi:[0,1]
	v_sub_f32_e32 v36, v24, v105
	v_fmamk_f32 v24, v116, 0x3f737871, v57
	v_pk_fma_f32 v[58:59], v[58:59], 0.5, v[4:5] op_sel_hi:[1,0,1] neg_lo:[1,0,0] neg_hi:[1,0,0]
	v_pk_mul_f32 v[66:67], v[60:61], s[6:7] op_sel_hi:[1,0]
	v_add_f32_e32 v24, v87, v24
	v_pk_add_f32 v[68:69], v[58:59], v[66:67] op_sel:[0,1] op_sel_hi:[1,0] neg_lo:[0,1] neg_hi:[0,1]
	v_pk_add_f32 v[58:59], v[58:59], v[66:67] op_sel:[0,1] op_sel_hi:[1,0]
	v_pk_add_f32 v[66:67], v[40:41], v[34:35] neg_lo:[0,1] neg_hi:[0,1]
	v_add_f32_e32 v24, v86, v24
	v_pk_mul_f32 v[70:71], v[66:67], s[8:9] op_sel_hi:[1,0]
	v_pk_mul_f32 v[54:55], v[24:25], s[8:9] op_sel_hi:[0,1]
	v_add_f32_e32 v24, v104, v36
	v_pk_add_f32 v[58:59], v[58:59], v[70:71] op_sel:[0,1] op_sel_hi:[1,0]
	v_pk_add_f32 v[68:69], v[68:69], v[70:71] op_sel:[0,1] op_sel_hi:[1,0] neg_lo:[0,1] neg_hi:[0,1]
	v_pk_fma_f32 v[70:71], v[24:25], s[14:15], v[54:55] neg_lo:[0,0,1] neg_hi:[0,0,1]
	v_pk_fma_f32 v[54:55], v[24:25], s[14:15], v[54:55] op_sel_hi:[0,1,1]
	v_mov_b32_e32 v71, v55
	v_pk_add_f32 v[54:55], v[4:5], v[50:51]
	v_pk_add_f32 v[88:89], v[202:203], v[200:201] neg_lo:[0,1] neg_hi:[0,1]
	v_pk_add_f32 v[76:77], v[76:77], v[148:149] neg_lo:[0,1] neg_hi:[0,1]
	v_pk_add_f32 v[54:55], v[54:55], v[40:41]
	ds_write2_b64 v119, v[88:89], v[76:77] offset0:66 offset1:141
	v_pk_add_f32 v[54:55], v[54:55], v[34:35]
	v_pk_add_f32 v[2:3], v[2:3], v[10:11]
	v_mov_b32_e32 v76, v68
	v_mov_b32_e32 v77, v59
	v_pk_add_f32 v[10:11], v[42:43], v[10:11]
	v_mov_b32_e32 v36, v56
	v_pk_add_f32 v[54:55], v[54:55], v[32:33]
	v_pk_fma_f32 v[76:77], v[52:53], s[2:3], v[76:77] op_sel_hi:[1,0,1]
	v_fmac_f32_e32 v36, -0.5, v10
	v_fmac_f32_e32 v37, -0.5, v11
	v_pk_add_f32 v[80:81], v[54:55], v[2:3]
	v_pk_add_f32 v[82:83], v[76:77], v[70:71]
	v_fmamk_f32 v24, v85, 0x3f737871, v36
	v_fmamk_f32 v42, v84, 0xbf737871, v37
	ds_write2_b64 v107, v[80:81], v[82:83] offset1:75
	v_pk_add_f32 v[80:81], v[50:51], v[32:33]
	v_pk_add_f32 v[32:33], v[34:35], v[32:33] neg_lo:[0,1] neg_hi:[0,1]
	v_sub_f32_e32 v34, v24, v99
	v_add_f32_e32 v24, v79, v42
	v_pk_add_f32 v[10:11], v[40:41], v[50:51] neg_lo:[0,1] neg_hi:[0,1]
	v_add_f32_e32 v24, v78, v24
	v_pk_add_f32 v[10:11], v[10:11], v[32:33]
	v_pk_mul_f32 v[32:33], v[24:25], s[6:7] op_sel_hi:[0,1]
	v_add_f32_e32 v24, v98, v34
	v_pk_fma_f32 v[34:35], v[24:25], s[2:3], v[32:33] neg_lo:[0,0,1] neg_hi:[0,0,1]
	v_pk_fma_f32 v[32:33], v[24:25], s[2:3], v[32:33] op_sel_hi:[0,1,1]
	v_pk_fma_f32 v[4:5], v[80:81], 0.5, v[4:5] op_sel_hi:[1,0,1] neg_lo:[1,0,0] neg_hi:[1,0,0]
	v_fmac_f32_e32 v36, 0xbf737871, v85
	v_fmac_f32_e32 v37, 0x3f737871, v84
	v_mov_b32_e32 v35, v33
	v_pk_mul_f32 v[32:33], v[66:67], s[6:7] op_sel_hi:[1,0]
	v_add_f32_e32 v24, v99, v36
	v_pk_add_f32 v[40:41], v[4:5], v[32:33] op_sel:[0,1] op_sel_hi:[1,0]
	v_pk_add_f32 v[4:5], v[4:5], v[32:33] op_sel:[0,1] op_sel_hi:[1,0] neg_lo:[0,1] neg_hi:[0,1]
	v_pk_mul_f32 v[32:33], v[60:61], s[8:9] op_sel_hi:[1,0]
	v_sub_f32_e32 v36, v37, v79
	v_pk_add_f32 v[4:5], v[4:5], v[32:33] op_sel:[0,1] op_sel_hi:[1,0]
	v_pk_add_f32 v[32:33], v[40:41], v[32:33] op_sel:[0,1] op_sel_hi:[1,0] neg_lo:[0,1] neg_hi:[0,1]
	v_add_f32_e32 v36, v78, v36
	v_add_f32_e32 v24, v98, v24
	v_pk_mul_f32 v[36:37], v[36:37], s[6:7] op_sel_hi:[0,1]
	v_mov_b32_e32 v40, v32
	v_mov_b32_e32 v41, v5
	;; [unrolled: 1-line block ×3, first 2 shown]
	v_pk_fma_f32 v[36:37], v[24:25], s[10:11], v[36:37] op_sel_hi:[0,1,1] neg_lo:[0,0,1] neg_hi:[0,0,1]
	v_pk_fma_f32 v[32:33], v[10:11], s[2:3], v[40:41] op_sel_hi:[1,0,1]
	v_pk_fma_f32 v[4:5], v[10:11], s[2:3], v[4:5] op_sel_hi:[1,0,1]
	v_pk_add_f32 v[10:11], v[32:33], v[34:35]
	v_pk_add_f32 v[40:41], v[4:5], v[36:37]
	v_fmac_f32_e32 v57, 0xbf737871, v116
	ds_write2_b64 v107, v[10:11], v[40:41] offset0:150 offset1:225
	v_fmac_f32_e32 v27, 0x3f737871, v117
	v_sub_f32_e32 v11, v57, v87
	v_add_f32_e32 v10, v105, v27
	v_add_f32_e32 v24, v86, v11
	;; [unrolled: 1-line block ×3, first 2 shown]
	v_pk_mul_f32 v[40:41], v[24:25], s[8:9] op_sel_hi:[0,1]
	v_mov_b32_e32 v59, v69
	v_pk_fma_f32 v[10:11], v[10:11], s[12:13], v[40:41] op_sel_hi:[0,1,1] neg_lo:[0,0,1] neg_hi:[0,0,1]
	v_pk_fma_f32 v[40:41], v[52:53], s[2:3], v[58:59] op_sel_hi:[1,0,1]
	v_pk_add_f32 v[2:3], v[54:55], v[2:3] neg_lo:[0,1] neg_hi:[0,1]
	v_pk_add_f32 v[42:43], v[40:41], v[10:11]
	ds_write2_b64 v143, v[42:43], v[2:3] offset0:44 offset1:119
	v_pk_add_f32 v[2:3], v[76:77], v[70:71] neg_lo:[0,1] neg_hi:[0,1]
	v_pk_add_f32 v[32:33], v[32:33], v[34:35] neg_lo:[0,1] neg_hi:[0,1]
	ds_write2_b64 v163, v[2:3], v[32:33] offset0:66 offset1:141
	v_pk_add_f32 v[2:3], v[4:5], v[36:37] neg_lo:[0,1] neg_hi:[0,1]
	v_pk_add_f32 v[4:5], v[40:41], v[10:11] neg_lo:[0,1] neg_hi:[0,1]
	ds_write2_b64 v171, v[2:3], v[4:5] offset0:88 offset1:163
	v_pk_add_f32 v[4:5], v[28:29], v[20:21]
	v_mov_b32_e32 v27, v25
	v_fma_f32 v4, -0.5, v4, v26
	v_fma_f32 v5, -0.5, v5, v25
	v_pk_add_f32 v[2:3], v[26:27], v[16:17]
	v_fmamk_f32 v24, v95, 0xbf737871, v4
	v_fmac_f32_e32 v4, 0x3f737871, v95
	v_fmamk_f32 v27, v94, 0x3f737871, v5
	v_fmac_f32_e32 v5, 0xbf737871, v94
	v_add_f32_e32 v10, v75, v4
	v_sub_f32_e32 v4, v5, v91
	v_add_f32_e32 v4, v90, v4
	v_pk_mul_f32 v[4:5], v[4:5], s[8:9] op_sel_hi:[0,1]
	v_add_f32_e32 v10, v74, v10
	v_pk_fma_f32 v[4:5], v[10:11], s[12:13], v[4:5] op_sel_hi:[0,1,1] neg_lo:[0,0,1] neg_hi:[0,0,1]
	v_pk_add_f32 v[10:11], v[0:1], v[18:19]
	v_pk_add_f32 v[2:3], v[2:3], v[28:29]
	;; [unrolled: 1-line block ×8, first 2 shown]
	v_pk_add_f32 v[20:21], v[10:11], v[2:3] neg_lo:[0,1] neg_hi:[0,1]
	v_pk_add_f32 v[2:3], v[10:11], v[2:3]
	v_add_f32_e32 v11, v91, v27
	ds_write2_b64 v175, v[28:29], v[20:21] offset0:44 offset1:119
	v_sub_f32_e32 v10, v24, v75
	v_add_f32_e32 v20, v90, v11
	v_add_f32_e32 v10, v74, v10
	v_pk_mul_f32 v[20:21], v[20:21], s[8:9] op_sel_hi:[0,1]
	v_pk_fma_f32 v[28:29], v[10:11], s[14:15], v[20:21] neg_lo:[0,0,1] neg_hi:[0,0,1]
	v_pk_fma_f32 v[10:11], v[10:11], s[14:15], v[20:21] op_sel_hi:[0,1,1]
	v_mov_b32_e32 v63, v65
	v_mov_b32_e32 v29, v11
	v_pk_fma_f32 v[10:11], v[30:31], s[2:3], v[62:63] op_sel_hi:[1,0,1]
	s_nop 0
	v_pk_add_f32 v[20:21], v[10:11], v[28:29]
	ds_write2_b64 v179, v[2:3], v[20:21] offset1:75
	v_pk_add_f32 v[2:3], v[18:19], v[8:9]
	v_pk_add_f32 v[8:9], v[12:13], v[8:9] neg_lo:[0,1] neg_hi:[0,1]
	v_pk_fma_f32 v[0:1], v[2:3], 0.5, v[0:1] op_sel_hi:[1,0,1] neg_lo:[1,0,0] neg_hi:[1,0,0]
	v_pk_add_f32 v[2:3], v[16:17], v[6:7]
	v_mov_b32_e32 v6, v26
	v_fmac_f32_e32 v25, -0.5, v3
	v_fmac_f32_e32 v6, -0.5, v2
	v_fmamk_f32 v17, v72, 0xbf737871, v25
	v_fmac_f32_e32 v25, 0x3f737871, v72
	v_fmamk_f32 v16, v73, 0x3f737871, v6
	v_fmac_f32_e32 v6, 0xbf737871, v73
	v_sub_f32_e32 v2, v25, v45
	v_add_f32_e32 v6, v23, v6
	v_add_f32_e32 v2, v44, v2
	v_pk_mul_f32 v[2:3], v[2:3], s[6:7] op_sel_hi:[0,1]
	v_add_f32_e32 v6, v22, v6
	v_add_f32_e32 v13, v45, v17
	v_pk_fma_f32 v[2:3], v[6:7], s[10:11], v[2:3] op_sel_hi:[0,1,1] neg_lo:[0,0,1] neg_hi:[0,0,1]
	v_pk_add_f32 v[6:7], v[14:15], v[18:19] neg_lo:[0,1] neg_hi:[0,1]
	v_sub_f32_e32 v12, v16, v23
	v_add_f32_e32 v14, v44, v13
	v_pk_add_f32 v[6:7], v[6:7], v[8:9]
	v_pk_fma_f32 v[8:9], v[48:49], s[6:7], v[0:1] op_sel:[1,0,0] op_sel_hi:[0,0,1] neg_lo:[1,0,0] neg_hi:[1,0,0]
	v_pk_fma_f32 v[0:1], v[48:49], s[6:7], v[0:1] op_sel:[1,0,0] op_sel_hi:[0,0,1]
	v_add_f32_e32 v12, v22, v12
	v_pk_mul_f32 v[14:15], v[14:15], s[6:7] op_sel_hi:[0,1]
	v_pk_fma_f32 v[0:1], v[46:47], s[8:9], v[0:1] op_sel:[1,0,0] op_sel_hi:[0,0,1] neg_lo:[1,0,0] neg_hi:[1,0,0]
	v_pk_fma_f32 v[8:9], v[46:47], s[8:9], v[8:9] op_sel:[1,0,0] op_sel_hi:[0,0,1]
	v_pk_fma_f32 v[16:17], v[12:13], s[2:3], v[14:15] neg_lo:[0,0,1] neg_hi:[0,0,1]
	v_pk_fma_f32 v[12:13], v[12:13], s[2:3], v[14:15] op_sel_hi:[0,1,1]
	v_mov_b32_e32 v17, v13
	v_mov_b32_e32 v12, v8
	;; [unrolled: 1-line block ×4, first 2 shown]
	v_pk_fma_f32 v[8:9], v[6:7], s[2:3], v[12:13] op_sel_hi:[1,0,1]
	v_pk_fma_f32 v[0:1], v[6:7], s[2:3], v[0:1] op_sel_hi:[1,0,1]
	v_pk_add_f32 v[6:7], v[8:9], v[2:3]
	v_pk_add_f32 v[12:13], v[0:1], v[16:17]
	ds_write2_b64 v179, v[12:13], v[6:7] offset0:150 offset1:225
	v_pk_add_f32 v[6:7], v[10:11], v[28:29] neg_lo:[0,1] neg_hi:[0,1]
	v_pk_add_f32 v[0:1], v[0:1], v[16:17] neg_lo:[0,1] neg_hi:[0,1]
	ds_write2_b64 v151, v[6:7], v[0:1] offset0:66 offset1:141
	v_pk_add_f32 v[0:1], v[38:39], v[4:5] neg_lo:[0,1] neg_hi:[0,1]
	v_pk_add_f32 v[2:3], v[8:9], v[2:3] neg_lo:[0,1] neg_hi:[0,1]
	ds_write2_b64 v159, v[2:3], v[0:1] offset0:88 offset1:163
	s_waitcnt lgkmcnt(0)
	s_barrier
	ds_read2_b64 v[0:3], v103 offset0:110 offset1:235
	ds_read2_b64 v[12:15], v167 offset0:92 offset1:217
	;; [unrolled: 1-line block ×3, first 2 shown]
	v_accvgpr_read_b32 v8, a204
	ds_read2_b64 v[28:31], v135 offset0:86 offset1:211
	s_waitcnt lgkmcnt(3)
	v_pk_mul_f32 v[4:5], v[112:113], v[0:1] op_sel:[1,0]
	ds_read2_b64 v[32:35], v123 offset0:50 offset1:175
	v_pk_fma_f32 v[6:7], v[112:113], v[0:1], v[4:5] op_sel:[0,0,1] op_sel_hi:[1,1,0]
	v_pk_fma_f32 v[48:49], v[112:113], v[0:1], v[4:5] op_sel:[0,0,1] op_sel_hi:[0,1,0] neg_lo:[0,0,1] neg_hi:[0,0,1]
	v_accvgpr_read_b32 v0, a214
	s_waitcnt lgkmcnt(3)
	v_pk_mul_f32 v[0:1], v[0:1], v[12:13] op_sel_hi:[0,1]
	v_pk_fma_f32 v[10:11], v[114:115], v[12:13], v[0:1] op_sel:[0,0,1] op_sel_hi:[1,1,0]
	v_pk_fma_f32 v[50:51], v[114:115], v[12:13], v[0:1] op_sel:[0,0,1] op_sel_hi:[0,1,0] neg_lo:[0,0,1] neg_hi:[0,0,1]
	v_pk_mul_f32 v[0:1], v[144:145], v[2:3] op_sel:[1,0]
	v_pk_mul_f32 v[12:13], v[8:9], v[14:15] op_sel_hi:[0,1]
	v_pk_fma_f32 v[4:5], v[144:145], v[2:3], v[0:1] op_sel:[0,0,1] op_sel_hi:[1,1,0]
	v_pk_fma_f32 v[52:53], v[144:145], v[2:3], v[0:1] op_sel:[0,0,1] op_sel_hi:[0,1,0] neg_lo:[0,0,1] neg_hi:[0,0,1]
	ds_read2_b64 v[0:3], v111 offset0:74 offset1:199
	v_pk_fma_f32 v[8:9], v[146:147], v[14:15], v[12:13] op_sel:[0,0,1] op_sel_hi:[1,1,0]
	v_pk_fma_f32 v[54:55], v[146:147], v[14:15], v[12:13] op_sel:[0,0,1] op_sel_hi:[0,1,0] neg_lo:[0,0,1] neg_hi:[0,0,1]
	ds_read2_b64 v[36:39], v187 offset0:98 offset1:223
	ds_read2_b64 v[40:43], v127 offset0:80 offset1:205
	s_waitcnt lgkmcnt(2)
	v_pk_mul_f32 v[12:13], v[100:101], v[0:1] op_sel:[1,0]
	ds_read2_b64 v[44:47], v115 offset0:44 offset1:169
	v_pk_fma_f32 v[20:21], v[100:101], v[0:1], v[12:13] op_sel:[0,0,1] op_sel_hi:[1,1,0]
	v_pk_fma_f32 v[56:57], v[100:101], v[0:1], v[12:13] op_sel:[0,0,1] op_sel_hi:[0,1,0] neg_lo:[0,0,1] neg_hi:[0,0,1]
	v_accvgpr_read_b32 v0, a206
	v_pk_mul_f32 v[0:1], v[0:1], v[24:25] op_sel_hi:[0,1]
	v_pk_fma_f32 v[22:23], v[102:103], v[24:25], v[0:1] op_sel:[0,0,1] op_sel_hi:[1,1,0]
	v_pk_fma_f32 v[58:59], v[102:103], v[24:25], v[0:1] op_sel:[0,0,1] op_sel_hi:[0,1,0] neg_lo:[0,0,1] neg_hi:[0,0,1]
	v_pk_mul_f32 v[0:1], v[120:121], v[2:3] op_sel:[1,0]
	v_accvgpr_read_b32 v12, a196
	v_pk_fma_f32 v[14:15], v[120:121], v[2:3], v[0:1] op_sel:[0,0,1] op_sel_hi:[1,1,0]
	v_pk_fma_f32 v[60:61], v[120:121], v[2:3], v[0:1] op_sel:[0,0,1] op_sel_hi:[0,1,0] neg_lo:[0,0,1] neg_hi:[0,0,1]
	ds_read2_b64 v[0:3], v97 offset0:104 offset1:229
	v_pk_mul_f32 v[12:13], v[12:13], v[26:27] op_sel_hi:[0,1]
	v_pk_fma_f32 v[18:19], v[122:123], v[26:27], v[12:13] op_sel:[0,0,1] op_sel_hi:[1,1,0]
	v_pk_fma_f32 v[62:63], v[122:123], v[26:27], v[12:13] op_sel:[0,0,1] op_sel_hi:[0,1,0] neg_lo:[0,0,1] neg_hi:[0,0,1]
	v_accvgpr_read_b32 v24, a212
	s_waitcnt lgkmcnt(0)
	v_pk_mul_f32 v[16:17], v[164:165], v[0:1] op_sel:[1,0]
	v_pk_mul_f32 v[24:25], v[24:25], v[30:31] op_sel_hi:[0,1]
	v_pk_fma_f32 v[12:13], v[164:165], v[0:1], v[16:17] op_sel:[0,0,1] op_sel_hi:[1,1,0]
	v_pk_fma_f32 v[64:65], v[164:165], v[0:1], v[16:17] op_sel:[0,0,1] op_sel_hi:[0,1,0] neg_lo:[0,0,1] neg_hi:[0,0,1]
	v_accvgpr_read_b32 v0, a220
	v_pk_mul_f32 v[0:1], v[0:1], v[28:29] op_sel_hi:[0,1]
	v_pk_fma_f32 v[16:17], v[166:167], v[28:29], v[0:1] op_sel:[0,0,1] op_sel_hi:[1,1,0]
	v_pk_fma_f32 v[66:67], v[166:167], v[28:29], v[0:1] op_sel:[0,0,1] op_sel_hi:[0,1,0] neg_lo:[0,0,1] neg_hi:[0,0,1]
	v_pk_mul_f32 v[0:1], v[152:153], v[2:3] op_sel:[1,0]
	v_pk_fma_f32 v[72:73], v[154:155], v[30:31], v[24:25] op_sel:[0,0,1] op_sel_hi:[1,1,0]
	v_pk_fma_f32 v[68:69], v[152:153], v[2:3], v[0:1] op_sel:[0,0,1] op_sel_hi:[1,1,0]
	v_pk_fma_f32 v[70:71], v[152:153], v[2:3], v[0:1] op_sel:[0,0,1] op_sel_hi:[0,1,0] neg_lo:[0,0,1] neg_hi:[0,0,1]
	ds_read2_b64 v[0:3], v183 offset0:68 offset1:193
	v_pk_fma_f32 v[74:75], v[154:155], v[30:31], v[24:25] op_sel:[0,0,1] op_sel_hi:[0,1,0] neg_lo:[0,0,1] neg_hi:[0,0,1]
	v_mov_b32_e32 v7, v49
	v_mov_b32_e32 v11, v51
	ds_read2_b64 v[48:51], v96 offset1:125
	s_waitcnt lgkmcnt(1)
	v_pk_mul_f32 v[26:27], v[132:133], v[0:1] op_sel:[1,0]
	v_mov_b32_e32 v21, v57
	v_pk_fma_f32 v[24:25], v[132:133], v[0:1], v[26:27] op_sel:[0,0,1] op_sel_hi:[1,1,0]
	v_pk_fma_f32 v[76:77], v[132:133], v[0:1], v[26:27] op_sel:[0,0,1] op_sel_hi:[0,1,0] neg_lo:[0,0,1] neg_hi:[0,0,1]
	v_accvgpr_read_b32 v0, a210
	v_pk_mul_f32 v[0:1], v[0:1], v[32:33] op_sel_hi:[0,1]
	v_pk_fma_f32 v[26:27], v[134:135], v[32:33], v[0:1] op_sel:[0,0,1] op_sel_hi:[1,1,0]
	v_pk_fma_f32 v[78:79], v[134:135], v[32:33], v[0:1] op_sel:[0,0,1] op_sel_hi:[0,1,0] neg_lo:[0,0,1] neg_hi:[0,0,1]
	v_pk_mul_f32 v[0:1], v[128:129], v[2:3] op_sel:[1,0]
	v_mov_b32_e32 v23, v59
	v_pk_fma_f32 v[80:81], v[128:129], v[2:3], v[0:1] op_sel:[0,0,1] op_sel_hi:[1,1,0]
	v_pk_fma_f32 v[82:83], v[128:129], v[2:3], v[0:1] op_sel:[0,0,1] op_sel_hi:[0,1,0] neg_lo:[0,0,1] neg_hi:[0,0,1]
	v_accvgpr_read_b32 v0, a202
	v_pk_mul_f32 v[0:1], v[0:1], v[34:35] op_sel_hi:[0,1]
	v_pk_fma_f32 v[84:85], v[130:131], v[34:35], v[0:1] op_sel:[0,0,1] op_sel_hi:[1,1,0]
	v_pk_fma_f32 v[86:87], v[130:131], v[34:35], v[0:1] op_sel:[0,0,1] op_sel_hi:[0,1,0] neg_lo:[0,0,1] neg_hi:[0,0,1]
	v_pk_mul_f32 v[0:1], v[184:185], v[36:37] op_sel:[1,0]
	v_mov_b32_e32 v5, v53
	v_pk_fma_f32 v[28:29], v[184:185], v[36:37], v[0:1] op_sel:[0,0,1] op_sel_hi:[1,1,0]
	v_pk_fma_f32 v[88:89], v[184:185], v[36:37], v[0:1] op_sel:[0,0,1] op_sel_hi:[0,1,0] neg_lo:[0,0,1] neg_hi:[0,0,1]
	ds_read2_b64 v[34:37], v155 offset0:62 offset1:187
	v_accvgpr_read_b32 v0, a224
	v_pk_mul_f32 v[0:1], v[0:1], v[40:41] op_sel_hi:[0,1]
	v_pk_fma_f32 v[30:31], v[186:187], v[40:41], v[0:1] op_sel:[0,0,1] op_sel_hi:[1,1,0]
	v_pk_fma_f32 v[40:41], v[186:187], v[40:41], v[0:1] op_sel:[0,0,1] op_sel_hi:[0,1,0] neg_lo:[0,0,1] neg_hi:[0,0,1]
	s_waitcnt lgkmcnt(0)
	v_pk_mul_f32 v[0:1], v[180:181], v[34:35] op_sel:[1,0]
	v_mov_b32_e32 v9, v55
	v_pk_fma_f32 v[32:33], v[180:181], v[34:35], v[0:1] op_sel:[0,0,1] op_sel_hi:[1,1,0]
	v_pk_fma_f32 v[90:91], v[180:181], v[34:35], v[0:1] op_sel:[0,0,1] op_sel_hi:[0,1,0] neg_lo:[0,0,1] neg_hi:[0,0,1]
	v_accvgpr_read_b32 v0, a226
	v_pk_mul_f32 v[0:1], v[0:1], v[44:45] op_sel_hi:[0,1]
	v_pk_fma_f32 v[34:35], v[182:183], v[44:45], v[0:1] op_sel:[0,0,1] op_sel_hi:[1,1,0]
	v_pk_fma_f32 v[44:45], v[182:183], v[44:45], v[0:1] op_sel:[0,0,1] op_sel_hi:[0,1,0] neg_lo:[0,0,1] neg_hi:[0,0,1]
	v_pk_add_f32 v[0:1], v[48:49], v[6:7]
	v_mov_b32_e32 v15, v61
	v_pk_add_f32 v[0:1], v[0:1], v[10:11]
	v_mov_b32_e32 v19, v63
	;; [unrolled: 2-line block ×3, first 2 shown]
	v_pk_add_f32 v[56:57], v[0:1], v[22:23]
	v_pk_add_f32 v[0:1], v[50:51], v[4:5]
	v_mov_b32_e32 v69, v71
	v_pk_add_f32 v[0:1], v[0:1], v[8:9]
	v_mov_b32_e32 v17, v67
	;; [unrolled: 2-line block ×3, first 2 shown]
	v_pk_add_f32 v[58:59], v[0:1], v[18:19]
	ds_read2_b64 v[52:55], v254 offset0:122 offset1:247
	ds_read2_b64 v[0:3], v147 offset0:116 offset1:241
	ds_write2_b64 v96, v[56:57], v[58:59] offset1:125
	v_mov_b32_e32 v25, v77
	v_mov_b32_e32 v81, v83
	s_waitcnt lgkmcnt(2)
	v_pk_add_f32 v[56:57], v[52:53], v[12:13]
	v_pk_add_f32 v[58:59], v[54:55], v[68:69]
	;; [unrolled: 1-line block ×4, first 2 shown]
	v_mov_b32_e32 v27, v79
	v_mov_b32_e32 v85, v87
	v_pk_add_f32 v[56:57], v[56:57], v[24:25]
	v_pk_add_f32 v[58:59], v[58:59], v[80:81]
	;; [unrolled: 1-line block ×4, first 2 shown]
	v_mov_b32_e32 v31, v41
	v_mov_b32_e32 v35, v45
	v_pk_add_f32 v[40:41], v[68:69], v[72:73] neg_lo:[0,1] neg_hi:[0,1]
	v_pk_add_f32 v[44:45], v[84:85], v[80:81] neg_lo:[0,1] neg_hi:[0,1]
	ds_write2_b64 v254, v[56:57], v[58:59] offset0:122 offset1:247
	v_pk_add_f32 v[40:41], v[40:41], v[44:45]
	v_pk_add_f32 v[44:45], v[72:73], v[80:81]
	v_pk_add_f32 v[56:57], v[68:69], v[84:85] neg_lo:[0,1] neg_hi:[0,1]
	v_pk_fma_f32 v[44:45], v[44:45], 0.5, v[54:55] op_sel_hi:[1,0,1] neg_lo:[1,0,0] neg_hi:[1,0,0]
	v_pk_mul_f32 v[58:59], v[56:57], s[6:7] op_sel_hi:[1,0]
	v_pk_add_f32 v[64:65], v[68:69], v[84:85]
	v_pk_add_f32 v[60:61], v[44:45], v[58:59] op_sel:[0,1] op_sel_hi:[1,0] neg_lo:[0,1] neg_hi:[0,1]
	v_pk_add_f32 v[44:45], v[44:45], v[58:59] op_sel:[0,1] op_sel_hi:[1,0]
	v_pk_add_f32 v[58:59], v[72:73], v[80:81] neg_lo:[0,1] neg_hi:[0,1]
	v_pk_fma_f32 v[54:55], v[64:65], 0.5, v[54:55] op_sel_hi:[1,0,1] neg_lo:[1,0,0] neg_hi:[1,0,0]
	v_pk_mul_f32 v[62:63], v[58:59], s[8:9] op_sel_hi:[1,0]
	v_pk_mul_f32 v[58:59], v[58:59], s[6:7] op_sel_hi:[1,0]
	v_pk_add_f32 v[44:45], v[44:45], v[62:63] op_sel:[0,1] op_sel_hi:[1,0]
	v_pk_add_f32 v[60:61], v[60:61], v[62:63] op_sel:[0,1] op_sel_hi:[1,0] neg_lo:[0,1] neg_hi:[0,1]
	v_mov_b32_e32 v63, v45
	v_mov_b32_e32 v62, v60
	;; [unrolled: 1-line block ×3, first 2 shown]
	v_pk_fma_f32 v[62:63], v[40:41], s[2:3], v[62:63] op_sel_hi:[1,0,1]
	v_pk_fma_f32 v[40:41], v[40:41], s[2:3], v[44:45] op_sel_hi:[1,0,1]
	ds_write_b64 v96, v[40:41] offset:27000
	v_pk_mul_f32 v[40:41], v[124:125], v[38:39] op_sel:[1,0]
	v_pk_add_f32 v[64:65], v[54:55], v[58:59] op_sel:[0,1] op_sel_hi:[1,0]
	v_pk_fma_f32 v[44:45], v[124:125], v[38:39], v[40:41] op_sel:[0,0,1] op_sel_hi:[1,1,0]
	v_pk_fma_f32 v[38:39], v[124:125], v[38:39], v[40:41] op_sel:[0,0,1] op_sel_hi:[0,1,0] neg_lo:[0,0,1] neg_hi:[0,0,1]
	v_accvgpr_read_b32 v38, a186
	v_mov_b32_e32 v45, v39
	v_pk_mul_f32 v[38:39], v[38:39], v[42:43] op_sel_hi:[0,1]
	v_pk_fma_f32 v[40:41], v[126:127], v[42:43], v[38:39] op_sel:[0,0,1] op_sel_hi:[1,1,0]
	v_pk_fma_f32 v[38:39], v[126:127], v[42:43], v[38:39] op_sel:[0,0,1] op_sel_hi:[0,1,0] neg_lo:[0,0,1] neg_hi:[0,0,1]
	v_mov_b32_e32 v41, v39
	v_pk_mul_f32 v[38:39], v[108:109], v[36:37] op_sel:[1,0]
	v_pk_add_f32 v[54:55], v[54:55], v[58:59] op_sel:[0,1] op_sel_hi:[1,0] neg_lo:[0,1] neg_hi:[0,1]
	v_pk_mul_f32 v[56:57], v[56:57], s[8:9] op_sel_hi:[1,0]
	v_pk_fma_f32 v[42:43], v[108:109], v[36:37], v[38:39] op_sel:[0,0,1] op_sel_hi:[1,1,0]
	v_pk_fma_f32 v[36:37], v[108:109], v[36:37], v[38:39] op_sel:[0,0,1] op_sel_hi:[0,1,0] neg_lo:[0,0,1] neg_hi:[0,0,1]
	ds_write_b64 v96, v[62:63] offset:9000
	v_pk_add_f32 v[62:63], v[72:73], v[68:69] neg_lo:[0,1] neg_hi:[0,1]
	v_pk_add_f32 v[66:67], v[80:81], v[84:85] neg_lo:[0,1] neg_hi:[0,1]
	v_pk_add_f32 v[54:55], v[54:55], v[56:57] op_sel:[0,1] op_sel_hi:[1,0]
	v_pk_add_f32 v[56:57], v[64:65], v[56:57] op_sel:[0,1] op_sel_hi:[1,0] neg_lo:[0,1] neg_hi:[0,1]
	v_accvgpr_read_b32 v36, a188
	v_pk_add_f32 v[62:63], v[62:63], v[66:67]
	v_mov_b32_e32 v58, v56
	v_mov_b32_e32 v59, v55
	;; [unrolled: 1-line block ×3, first 2 shown]
	v_pk_mul_f32 v[36:37], v[36:37], v[46:47] op_sel_hi:[0,1]
	v_pk_fma_f32 v[58:59], v[62:63], s[2:3], v[58:59] op_sel_hi:[1,0,1]
	v_mov_b32_e32 v55, v57
	v_pk_fma_f32 v[38:39], v[110:111], v[46:47], v[36:37] op_sel:[0,0,1] op_sel_hi:[1,1,0]
	v_pk_fma_f32 v[36:37], v[110:111], v[46:47], v[36:37] op_sel:[0,0,1] op_sel_hi:[0,1,0] neg_lo:[0,0,1] neg_hi:[0,0,1]
	v_pk_add_f32 v[46:47], v[10:11], v[20:21]
	v_pk_add_f32 v[56:57], v[6:7], v[22:23] neg_lo:[0,1] neg_hi:[0,1]
	ds_write_b64 v96, v[58:59] offset:15000
	v_pk_fma_f32 v[46:47], v[46:47], 0.5, v[48:49] op_sel_hi:[1,0,1] neg_lo:[1,0,0] neg_hi:[1,0,0]
	v_pk_mul_f32 v[58:59], v[56:57], s[6:7] op_sel_hi:[1,0]
	v_pk_add_f32 v[60:61], v[10:11], v[20:21] neg_lo:[0,1] neg_hi:[0,1]
	v_pk_add_f32 v[64:65], v[6:7], v[10:11] neg_lo:[0,1] neg_hi:[0,1]
	;; [unrolled: 1-line block ×3, first 2 shown]
	v_pk_fma_f32 v[54:55], v[62:63], s[2:3], v[54:55] op_sel_hi:[1,0,1]
	v_pk_mul_f32 v[62:63], v[60:61], s[8:9] op_sel_hi:[1,0]
	v_pk_add_f32 v[64:65], v[64:65], v[66:67]
	v_pk_add_f32 v[66:67], v[46:47], v[58:59] op_sel:[0,1] op_sel_hi:[1,0] neg_lo:[0,1] neg_hi:[0,1]
	v_pk_add_f32 v[46:47], v[46:47], v[58:59] op_sel:[0,1] op_sel_hi:[1,0]
	v_pk_add_f32 v[58:59], v[66:67], v[62:63] op_sel:[0,1] op_sel_hi:[1,0] neg_lo:[0,1] neg_hi:[0,1]
	v_pk_add_f32 v[66:67], v[6:7], v[22:23]
	v_pk_add_f32 v[6:7], v[10:11], v[6:7] neg_lo:[0,1] neg_hi:[0,1]
	v_pk_add_f32 v[10:11], v[20:21], v[22:23] neg_lo:[0,1] neg_hi:[0,1]
	v_pk_fma_f32 v[48:49], v[66:67], 0.5, v[48:49] op_sel_hi:[1,0,1] neg_lo:[1,0,0] neg_hi:[1,0,0]
	v_pk_add_f32 v[6:7], v[6:7], v[10:11]
	v_pk_mul_f32 v[10:11], v[60:61], s[6:7] op_sel_hi:[1,0]
	v_pk_mul_f32 v[20:21], v[56:57], s[8:9] op_sel_hi:[1,0]
	v_pk_add_f32 v[22:23], v[48:49], v[10:11] op_sel:[0,1] op_sel_hi:[1,0]
	v_pk_add_f32 v[10:11], v[48:49], v[10:11] op_sel:[0,1] op_sel_hi:[1,0] neg_lo:[0,1] neg_hi:[0,1]
	v_pk_add_f32 v[46:47], v[46:47], v[62:63] op_sel:[0,1] op_sel_hi:[1,0]
	v_pk_add_f32 v[10:11], v[10:11], v[20:21] op_sel:[0,1] op_sel_hi:[1,0]
	v_pk_add_f32 v[20:21], v[22:23], v[20:21] op_sel:[0,1] op_sel_hi:[1,0] neg_lo:[0,1] neg_hi:[0,1]
	v_mov_b32_e32 v63, v47
	v_mov_b32_e32 v22, v20
	;; [unrolled: 1-line block ×6, first 2 shown]
	v_pk_fma_f32 v[22:23], v[6:7], s[2:3], v[22:23] op_sel_hi:[1,0,1]
	v_pk_fma_f32 v[6:7], v[6:7], s[2:3], v[10:11] op_sel_hi:[1,0,1]
	;; [unrolled: 1-line block ×3, first 2 shown]
	v_pk_add_f32 v[20:21], v[8:9], v[14:15]
	v_pk_add_f32 v[46:47], v[4:5], v[18:19] neg_lo:[0,1] neg_hi:[0,1]
	v_pk_fma_f32 v[62:63], v[64:65], s[2:3], v[62:63] op_sel_hi:[1,0,1]
	v_pk_fma_f32 v[20:21], v[20:21], 0.5, v[50:51] op_sel_hi:[1,0,1] neg_lo:[1,0,0] neg_hi:[1,0,0]
	v_pk_mul_f32 v[48:49], v[46:47], s[6:7] op_sel_hi:[1,0]
	v_pk_add_f32 v[56:57], v[8:9], v[14:15] neg_lo:[0,1] neg_hi:[0,1]
	v_pk_add_f32 v[60:61], v[4:5], v[8:9] neg_lo:[0,1] neg_hi:[0,1]
	;; [unrolled: 1-line block ×3, first 2 shown]
	v_pk_mul_f32 v[58:59], v[56:57], s[8:9] op_sel_hi:[1,0]
	v_pk_add_f32 v[60:61], v[60:61], v[64:65]
	v_pk_add_f32 v[64:65], v[20:21], v[48:49] op_sel:[0,1] op_sel_hi:[1,0] neg_lo:[0,1] neg_hi:[0,1]
	v_pk_add_f32 v[20:21], v[20:21], v[48:49] op_sel:[0,1] op_sel_hi:[1,0]
	v_pk_add_f32 v[48:49], v[64:65], v[58:59] op_sel:[0,1] op_sel_hi:[1,0] neg_lo:[0,1] neg_hi:[0,1]
	v_pk_add_f32 v[64:65], v[4:5], v[18:19]
	v_pk_add_f32 v[4:5], v[8:9], v[4:5] neg_lo:[0,1] neg_hi:[0,1]
	v_pk_add_f32 v[8:9], v[14:15], v[18:19] neg_lo:[0,1] neg_hi:[0,1]
	v_pk_fma_f32 v[50:51], v[64:65], 0.5, v[50:51] op_sel_hi:[1,0,1] neg_lo:[1,0,0] neg_hi:[1,0,0]
	v_pk_add_f32 v[4:5], v[4:5], v[8:9]
	v_pk_mul_f32 v[8:9], v[56:57], s[6:7] op_sel_hi:[1,0]
	v_pk_mul_f32 v[14:15], v[46:47], s[8:9] op_sel_hi:[1,0]
	v_pk_add_f32 v[18:19], v[50:51], v[8:9] op_sel:[0,1] op_sel_hi:[1,0]
	v_pk_add_f32 v[8:9], v[50:51], v[8:9] op_sel:[0,1] op_sel_hi:[1,0] neg_lo:[0,1] neg_hi:[0,1]
	v_pk_add_f32 v[20:21], v[20:21], v[58:59] op_sel:[0,1] op_sel_hi:[1,0]
	v_pk_add_f32 v[8:9], v[8:9], v[14:15] op_sel:[0,1] op_sel_hi:[1,0]
	v_pk_add_f32 v[14:15], v[18:19], v[14:15] op_sel:[0,1] op_sel_hi:[1,0] neg_lo:[0,1] neg_hi:[0,1]
	v_mov_b32_e32 v19, v9
	v_mov_b32_e32 v18, v14
	;; [unrolled: 1-line block ×4, first 2 shown]
	v_pk_fma_f32 v[18:19], v[4:5], s[2:3], v[18:19] op_sel_hi:[1,0,1]
	v_pk_fma_f32 v[4:5], v[4:5], s[2:3], v[8:9] op_sel_hi:[1,0,1]
	v_mov_b32_e32 v21, v49
	v_mov_b32_e32 v58, v48
	ds_write2_b64 v111, v[6:7], v[4:5] offset0:74 offset1:199
	v_pk_fma_f32 v[4:5], v[60:61], s[2:3], v[20:21] op_sel_hi:[1,0,1]
	ds_write_b64 v96, v[54:55] offset:21000
	v_pk_fma_f32 v[58:59], v[60:61], s[2:3], v[58:59] op_sel_hi:[1,0,1]
	ds_write2_b64 v167, v[22:23], v[18:19] offset0:92 offset1:217
	ds_write2_b64 v131, v[10:11], v[4:5] offset0:56 offset1:181
	ds_write2_b64 v103, v[62:63], v[58:59] offset0:110 offset1:235
	v_pk_add_f32 v[4:5], v[16:17], v[24:25]
	v_pk_add_f32 v[6:7], v[12:13], v[26:27] neg_lo:[0,1] neg_hi:[0,1]
	v_pk_fma_f32 v[4:5], v[4:5], 0.5, v[52:53] op_sel_hi:[1,0,1] neg_lo:[1,0,0] neg_hi:[1,0,0]
	v_pk_mul_f32 v[8:9], v[6:7], s[6:7] op_sel_hi:[1,0]
	v_pk_add_f32 v[10:11], v[16:17], v[24:25] neg_lo:[0,1] neg_hi:[0,1]
	v_pk_add_f32 v[18:19], v[12:13], v[16:17] neg_lo:[0,1] neg_hi:[0,1]
	v_pk_add_f32 v[20:21], v[26:27], v[24:25] neg_lo:[0,1] neg_hi:[0,1]
	v_pk_mul_f32 v[14:15], v[10:11], s[8:9] op_sel_hi:[1,0]
	v_pk_add_f32 v[18:19], v[18:19], v[20:21]
	v_pk_add_f32 v[20:21], v[4:5], v[8:9] op_sel:[0,1] op_sel_hi:[1,0] neg_lo:[0,1] neg_hi:[0,1]
	v_pk_add_f32 v[4:5], v[4:5], v[8:9] op_sel:[0,1] op_sel_hi:[1,0]
	v_pk_add_f32 v[8:9], v[20:21], v[14:15] op_sel:[0,1] op_sel_hi:[1,0] neg_lo:[0,1] neg_hi:[0,1]
	v_pk_add_f32 v[20:21], v[12:13], v[26:27]
	v_pk_add_f32 v[12:13], v[16:17], v[12:13] neg_lo:[0,1] neg_hi:[0,1]
	v_pk_fma_f32 v[20:21], v[20:21], 0.5, v[52:53] op_sel_hi:[1,0,1] neg_lo:[1,0,0] neg_hi:[1,0,0]
	v_pk_add_f32 v[16:17], v[24:25], v[26:27] neg_lo:[0,1] neg_hi:[0,1]
	v_pk_mul_f32 v[10:11], v[10:11], s[6:7] op_sel_hi:[1,0]
	v_pk_add_f32 v[12:13], v[12:13], v[16:17]
	v_pk_mul_f32 v[6:7], v[6:7], s[8:9] op_sel_hi:[1,0]
	v_pk_add_f32 v[16:17], v[20:21], v[10:11] op_sel:[0,1] op_sel_hi:[1,0]
	v_pk_add_f32 v[10:11], v[20:21], v[10:11] op_sel:[0,1] op_sel_hi:[1,0] neg_lo:[0,1] neg_hi:[0,1]
	v_pk_add_f32 v[4:5], v[4:5], v[14:15] op_sel:[0,1] op_sel_hi:[1,0]
	v_pk_add_f32 v[10:11], v[10:11], v[6:7] op_sel:[0,1] op_sel_hi:[1,0]
	v_pk_add_f32 v[6:7], v[16:17], v[6:7] op_sel:[0,1] op_sel_hi:[1,0] neg_lo:[0,1] neg_hi:[0,1]
	v_mov_b32_e32 v15, v5
	v_mov_b32_e32 v16, v6
	;; [unrolled: 1-line block ×8, first 2 shown]
	v_pk_fma_f32 v[16:17], v[12:13], s[2:3], v[16:17] op_sel_hi:[1,0,1]
	v_pk_fma_f32 v[6:7], v[12:13], s[2:3], v[10:11] op_sel_hi:[1,0,1]
	;; [unrolled: 1-line block ×4, first 2 shown]
	ds_write_b64 v96, v[16:17] offset:14000
	ds_write_b64 v96, v[6:7] offset:20000
	;; [unrolled: 1-line block ×4, first 2 shown]
	v_pk_add_f32 v[4:5], v[30:31], v[32:33]
	v_pk_add_f32 v[6:7], v[28:29], v[34:35] neg_lo:[0,1] neg_hi:[0,1]
	s_waitcnt lgkmcnt(14)
	v_pk_fma_f32 v[4:5], v[4:5], 0.5, v[0:1] op_sel_hi:[1,0,1] neg_lo:[1,0,0] neg_hi:[1,0,0]
	v_pk_mul_f32 v[8:9], v[6:7], s[6:7] op_sel_hi:[1,0]
	v_pk_add_f32 v[10:11], v[30:31], v[32:33] neg_lo:[0,1] neg_hi:[0,1]
	v_pk_add_f32 v[14:15], v[28:29], v[30:31] neg_lo:[0,1] neg_hi:[0,1]
	;; [unrolled: 1-line block ×3, first 2 shown]
	v_pk_mul_f32 v[12:13], v[10:11], s[8:9] op_sel_hi:[1,0]
	v_pk_add_f32 v[14:15], v[14:15], v[16:17]
	v_pk_add_f32 v[16:17], v[4:5], v[8:9] op_sel:[0,1] op_sel_hi:[1,0] neg_lo:[0,1] neg_hi:[0,1]
	v_pk_add_f32 v[4:5], v[4:5], v[8:9] op_sel:[0,1] op_sel_hi:[1,0]
	v_pk_add_f32 v[8:9], v[16:17], v[12:13] op_sel:[0,1] op_sel_hi:[1,0] neg_lo:[0,1] neg_hi:[0,1]
	v_pk_add_f32 v[16:17], v[28:29], v[34:35]
	v_pk_add_f32 v[54:55], v[0:1], v[28:29]
	v_pk_fma_f32 v[0:1], v[16:17], 0.5, v[0:1] op_sel_hi:[1,0,1] neg_lo:[1,0,0] neg_hi:[1,0,0]
	v_pk_add_f32 v[16:17], v[30:31], v[28:29] neg_lo:[0,1] neg_hi:[0,1]
	v_pk_add_f32 v[18:19], v[32:33], v[34:35] neg_lo:[0,1] neg_hi:[0,1]
	v_pk_mul_f32 v[10:11], v[10:11], s[6:7] op_sel_hi:[1,0]
	v_pk_add_f32 v[16:17], v[16:17], v[18:19]
	v_pk_mul_f32 v[6:7], v[6:7], s[8:9] op_sel_hi:[1,0]
	v_pk_add_f32 v[18:19], v[0:1], v[10:11] op_sel:[0,1] op_sel_hi:[1,0]
	v_pk_add_f32 v[0:1], v[0:1], v[10:11] op_sel:[0,1] op_sel_hi:[1,0] neg_lo:[0,1] neg_hi:[0,1]
	v_mov_b32_e32 v39, v37
	v_pk_add_f32 v[4:5], v[4:5], v[12:13] op_sel:[0,1] op_sel_hi:[1,0]
	v_pk_add_f32 v[0:1], v[0:1], v[6:7] op_sel:[0,1] op_sel_hi:[1,0]
	v_pk_add_f32 v[6:7], v[18:19], v[6:7] op_sel:[0,1] op_sel_hi:[1,0] neg_lo:[0,1] neg_hi:[0,1]
	v_mov_b32_e32 v12, v8
	v_mov_b32_e32 v13, v5
	;; [unrolled: 1-line block ×6, first 2 shown]
	v_pk_add_f32 v[6:7], v[40:41], v[42:43]
	v_pk_add_f32 v[8:9], v[44:45], v[38:39] neg_lo:[0,1] neg_hi:[0,1]
	v_pk_fma_f32 v[12:13], v[14:15], s[2:3], v[12:13] op_sel_hi:[1,0,1]
	v_pk_fma_f32 v[10:11], v[16:17], s[2:3], v[10:11] op_sel_hi:[1,0,1]
	v_pk_fma_f32 v[0:1], v[16:17], s[2:3], v[0:1] op_sel_hi:[1,0,1]
	v_pk_fma_f32 v[4:5], v[14:15], s[2:3], v[4:5] op_sel_hi:[1,0,1]
	v_pk_fma_f32 v[6:7], v[6:7], 0.5, v[2:3] op_sel_hi:[1,0,1] neg_lo:[1,0,0] neg_hi:[1,0,0]
	v_pk_mul_f32 v[14:15], v[8:9], s[6:7] op_sel_hi:[1,0]
	v_pk_add_f32 v[16:17], v[40:41], v[42:43] neg_lo:[0,1] neg_hi:[0,1]
	v_pk_add_f32 v[20:21], v[44:45], v[40:41] neg_lo:[0,1] neg_hi:[0,1]
	;; [unrolled: 1-line block ×3, first 2 shown]
	v_pk_mul_f32 v[18:19], v[16:17], s[8:9] op_sel_hi:[1,0]
	v_pk_add_f32 v[20:21], v[20:21], v[22:23]
	v_pk_add_f32 v[22:23], v[6:7], v[14:15] op_sel:[0,1] op_sel_hi:[1,0] neg_lo:[0,1] neg_hi:[0,1]
	v_pk_add_f32 v[6:7], v[6:7], v[14:15] op_sel:[0,1] op_sel_hi:[1,0]
	v_pk_add_f32 v[14:15], v[22:23], v[18:19] op_sel:[0,1] op_sel_hi:[1,0] neg_lo:[0,1] neg_hi:[0,1]
	v_pk_add_f32 v[6:7], v[6:7], v[18:19] op_sel:[0,1] op_sel_hi:[1,0]
	v_mov_b32_e32 v18, v14
	v_mov_b32_e32 v19, v7
	v_pk_fma_f32 v[18:19], v[20:21], s[2:3], v[18:19] op_sel_hi:[1,0,1]
	ds_write2_b64 v187, v[12:13], v[18:19] offset0:98 offset1:223
	v_pk_add_f32 v[12:13], v[44:45], v[38:39]
	v_pk_add_f32 v[36:37], v[2:3], v[44:45]
	v_pk_fma_f32 v[2:3], v[12:13], 0.5, v[2:3] op_sel_hi:[1,0,1] neg_lo:[1,0,0] neg_hi:[1,0,0]
	v_pk_add_f32 v[12:13], v[40:41], v[44:45] neg_lo:[0,1] neg_hi:[0,1]
	v_pk_add_f32 v[18:19], v[42:43], v[38:39] neg_lo:[0,1] neg_hi:[0,1]
	v_pk_mul_f32 v[16:17], v[16:17], s[6:7] op_sel_hi:[1,0]
	v_pk_add_f32 v[12:13], v[12:13], v[18:19]
	v_pk_mul_f32 v[8:9], v[8:9], s[8:9] op_sel_hi:[1,0]
	v_pk_add_f32 v[18:19], v[2:3], v[16:17] op_sel:[0,1] op_sel_hi:[1,0]
	v_pk_add_f32 v[2:3], v[2:3], v[16:17] op_sel:[0,1] op_sel_hi:[1,0] neg_lo:[0,1] neg_hi:[0,1]
	v_pk_add_f32 v[54:55], v[54:55], v[30:31]
	v_pk_add_f32 v[2:3], v[2:3], v[8:9] op_sel:[0,1] op_sel_hi:[1,0]
	v_pk_add_f32 v[8:9], v[18:19], v[8:9] op_sel:[0,1] op_sel_hi:[1,0] neg_lo:[0,1] neg_hi:[0,1]
	v_pk_add_f32 v[36:37], v[36:37], v[40:41]
	v_mov_b32_e32 v17, v3
	v_mov_b32_e32 v3, v9
	v_pk_add_f32 v[54:55], v[54:55], v[32:33]
	v_pk_add_f32 v[36:37], v[36:37], v[42:43]
	v_mov_b32_e32 v16, v8
	v_pk_fma_f32 v[2:3], v[12:13], s[2:3], v[2:3] op_sel_hi:[1,0,1]
	v_mov_b32_e32 v7, v15
	v_pk_add_f32 v[54:55], v[54:55], v[34:35]
	v_pk_add_f32 v[36:37], v[36:37], v[38:39]
	v_pk_fma_f32 v[16:17], v[12:13], s[2:3], v[16:17] op_sel_hi:[1,0,1]
	ds_write2_b64 v155, v[0:1], v[2:3] offset0:62 offset1:187
	v_pk_fma_f32 v[0:1], v[20:21], s[2:3], v[6:7] op_sel_hi:[1,0,1]
	ds_write2_b64 v147, v[54:55], v[36:37] offset0:116 offset1:241
	ds_write2_b64 v127, v[10:11], v[16:17] offset0:80 offset1:205
	ds_write2_b64 v115, v[4:5], v[0:1] offset0:44 offset1:169
	s_waitcnt lgkmcnt(0)
	s_barrier
	ds_read2_b64 v[0:3], v96 offset1:125
	v_accvgpr_read_b32 v6, a24
	v_accvgpr_read_b32 v7, a25
	v_mov_b32_e32 v8, s0
	v_mov_b32_e32 v9, s1
	s_waitcnt lgkmcnt(0)
	v_mul_f32_e32 v4, v7, v1
	v_fmac_f32_e32 v4, v6, v0
	v_mul_f32_e32 v0, v7, v0
	s_mov_b32 s0, 0x9cbd821e
	v_fma_f32 v0, v6, v1, -v0
	s_mov_b32 s1, 0x3f3179ec
	v_cvt_f64_f32_e32 v[0:1], v0
	v_cvt_f64_f32_e32 v[4:5], v4
	v_mul_f64 v[0:1], v[0:1], s[0:1]
	v_mul_f64 v[4:5], v[4:5], s[0:1]
	v_cvt_f32_f64_e32 v11, v[0:1]
	v_mad_u64_u32 v[0:1], s[2:3], s4, v224, 0
	v_cvt_f32_f64_e32 v10, v[4:5]
	v_mov_b32_e32 v4, v1
	v_accvgpr_read_b32 v14, a0
	v_accvgpr_read_b32 v15, a2
	v_mad_u64_u32 v[12:13], s[2:3], s5, v224, v[4:5]
	ds_read2_b64 v[4:7], v187 offset0:98 offset1:223
	v_mov_b32_e32 v1, v12
	v_lshl_add_u64 v[8:9], v[14:15], 3, v[8:9]
	v_lshl_add_u64 v[0:1], v[0:1], 3, v[8:9]
	global_store_dwordx2 v[0:1], v[10:11], off
	v_accvgpr_read_b32 v10, a62
	v_accvgpr_read_b32 v11, a63
	s_waitcnt lgkmcnt(0)
	v_mul_f32_e32 v8, v11, v5
	v_fmac_f32_e32 v8, v10, v4
	v_cvt_f64_f32_e32 v[8:9], v8
	v_mul_f32_e32 v4, v11, v4
	v_mul_f64 v[8:9], v[8:9], s[0:1]
	v_fma_f32 v4, v10, v5, -v4
	v_mov_b32_e32 v14, 0x2710
	v_cvt_f32_f64_e32 v12, v[8:9]
	v_cvt_f64_f32_e32 v[4:5], v4
	ds_read2_b64 v[8:11], v183 offset0:68 offset1:193
	v_mad_u64_u32 v[0:1], s[2:3], s4, v14, v[0:1]
	v_mul_f64 v[4:5], v[4:5], s[0:1]
	s_mul_i32 s2, s5, 0x2710
	v_cvt_f32_f64_e32 v13, v[4:5]
	v_add_u32_e32 v1, s2, v1
	global_store_dwordx2 v[0:1], v[12:13], off
	v_accvgpr_read_b32 v12, a60
	v_accvgpr_read_b32 v13, a61
	s_waitcnt lgkmcnt(0)
	v_mul_f32_e32 v4, v13, v9
	v_fmac_f32_e32 v4, v12, v8
	v_cvt_f64_f32_e32 v[4:5], v4
	v_mul_f64 v[4:5], v[4:5], s[0:1]
	v_cvt_f32_f64_e32 v4, v[4:5]
	v_mul_f32_e32 v5, v13, v8
	v_fma_f32 v5, v12, v9, -v5
	v_cvt_f64_f32_e32 v[8:9], v5
	v_mul_f64 v[8:9], v[8:9], s[0:1]
	v_cvt_f32_f64_e32 v5, v[8:9]
	v_mad_u64_u32 v[0:1], s[6:7], s4, v14, v[0:1]
	v_accvgpr_read_b32 v8, a58
	v_add_u32_e32 v1, s2, v1
	v_accvgpr_read_b32 v9, a59
	global_store_dwordx2 v[0:1], v[4:5], off
	v_mul_f32_e32 v4, v9, v3
	v_fmac_f32_e32 v4, v8, v2
	v_mul_f32_e32 v2, v9, v2
	v_fma_f32 v2, v8, v3, -v2
	v_cvt_f64_f32_e32 v[4:5], v4
	v_cvt_f64_f32_e32 v[2:3], v2
	v_mov_b32_e32 v12, 0xffffb5c8
	s_mul_i32 s3, s5, 0xffffb5c8
	v_mul_f64 v[4:5], v[4:5], s[0:1]
	v_mul_f64 v[2:3], v[2:3], s[0:1]
	v_mad_u64_u32 v[0:1], s[6:7], s4, v12, v[0:1]
	s_sub_i32 s3, s3, s4
	v_cvt_f32_f64_e32 v4, v[4:5]
	v_cvt_f32_f64_e32 v5, v[2:3]
	v_add_u32_e32 v1, s3, v1
	global_store_dwordx2 v[0:1], v[4:5], off
	v_accvgpr_read_b32 v4, a56
	v_accvgpr_read_b32 v5, a57
	v_mul_f32_e32 v2, v5, v7
	v_fmac_f32_e32 v2, v4, v6
	v_cvt_f64_f32_e32 v[2:3], v2
	v_mul_f64 v[2:3], v[2:3], s[0:1]
	v_cvt_f32_f64_e32 v2, v[2:3]
	v_mul_f32_e32 v3, v5, v6
	v_fma_f32 v3, v4, v7, -v3
	v_cvt_f64_f32_e32 v[4:5], v3
	v_mov_b32_e32 v14, 0x2710
	v_mul_f64 v[4:5], v[4:5], s[0:1]
	v_cvt_f32_f64_e32 v3, v[4:5]
	v_mad_u64_u32 v[4:5], s[6:7], s4, v14, v[0:1]
	v_add_u32_e32 v5, s2, v5
	global_store_dwordx2 v[4:5], v[2:3], off
	v_accvgpr_read_b32 v2, a54
	v_accvgpr_read_b32 v3, a55
	v_mul_f32_e32 v0, v3, v11
	v_fmac_f32_e32 v0, v2, v10
	v_cvt_f64_f32_e32 v[0:1], v0
	v_mul_f64 v[0:1], v[0:1], s[0:1]
	v_cvt_f32_f64_e32 v6, v[0:1]
	v_mul_f32_e32 v0, v3, v10
	v_fma_f32 v0, v2, v11, -v0
	v_cvt_f64_f32_e32 v[0:1], v0
	v_mul_f64 v[0:1], v[0:1], s[0:1]
	v_cvt_f32_f64_e32 v7, v[0:1]
	ds_read2_b64 v[0:3], v254 offset0:122 offset1:247
	v_mad_u64_u32 v[8:9], s[6:7], s4, v14, v[4:5]
	v_add_u32_e32 v9, s2, v9
	global_store_dwordx2 v[8:9], v[6:7], off
	v_accvgpr_read_b32 v6, a52
	v_accvgpr_read_b32 v7, a53
	s_waitcnt lgkmcnt(0)
	v_mul_f32_e32 v4, v7, v1
	v_fmac_f32_e32 v4, v6, v0
	v_mul_f32_e32 v0, v7, v0
	v_cvt_f64_f32_e32 v[4:5], v4
	v_fma_f32 v0, v6, v1, -v0
	v_mul_f64 v[4:5], v[4:5], s[0:1]
	v_cvt_f64_f32_e32 v[0:1], v0
	v_cvt_f32_f64_e32 v10, v[4:5]
	v_mul_f64 v[0:1], v[0:1], s[0:1]
	ds_read2_b64 v[4:7], v167 offset0:92 offset1:217
	v_cvt_f32_f64_e32 v11, v[0:1]
	v_mad_u64_u32 v[0:1], s[6:7], s4, v12, v[8:9]
	v_add_u32_e32 v1, s3, v1
	global_store_dwordx2 v[0:1], v[10:11], off
	v_accvgpr_read_b32 v10, a50
	v_accvgpr_read_b32 v11, a51
	s_waitcnt lgkmcnt(0)
	v_mul_f32_e32 v8, v11, v5
	v_fmac_f32_e32 v8, v10, v4
	v_cvt_f64_f32_e32 v[8:9], v8
	v_mul_f32_e32 v4, v11, v4
	v_mul_f64 v[8:9], v[8:9], s[0:1]
	v_fma_f32 v4, v10, v5, -v4
	v_cvt_f32_f64_e32 v12, v[8:9]
	v_cvt_f64_f32_e32 v[4:5], v4
	ds_read2_b64 v[8:11], v155 offset0:62 offset1:187
	v_mul_f64 v[4:5], v[4:5], s[0:1]
	v_mad_u64_u32 v[0:1], s[6:7], s4, v14, v[0:1]
	v_cvt_f32_f64_e32 v13, v[4:5]
	v_add_u32_e32 v1, s2, v1
	global_store_dwordx2 v[0:1], v[12:13], off
	v_accvgpr_read_b32 v12, a48
	v_accvgpr_read_b32 v13, a49
	s_waitcnt lgkmcnt(0)
	v_mul_f32_e32 v4, v13, v9
	v_fmac_f32_e32 v4, v12, v8
	v_cvt_f64_f32_e32 v[4:5], v4
	v_mul_f64 v[4:5], v[4:5], s[0:1]
	v_cvt_f32_f64_e32 v4, v[4:5]
	v_mul_f32_e32 v5, v13, v8
	v_fma_f32 v5, v12, v9, -v5
	v_cvt_f64_f32_e32 v[8:9], v5
	v_mul_f64 v[8:9], v[8:9], s[0:1]
	v_cvt_f32_f64_e32 v5, v[8:9]
	v_mad_u64_u32 v[0:1], s[6:7], s4, v14, v[0:1]
	v_accvgpr_read_b32 v8, a46
	v_add_u32_e32 v1, s2, v1
	v_accvgpr_read_b32 v9, a47
	global_store_dwordx2 v[0:1], v[4:5], off
	v_mul_f32_e32 v4, v9, v3
	v_fmac_f32_e32 v4, v8, v2
	v_mul_f32_e32 v2, v9, v2
	v_fma_f32 v2, v8, v3, -v2
	v_cvt_f64_f32_e32 v[4:5], v4
	v_cvt_f64_f32_e32 v[2:3], v2
	v_mov_b32_e32 v12, 0xffffb5c8
	v_mul_f64 v[4:5], v[4:5], s[0:1]
	v_mul_f64 v[2:3], v[2:3], s[0:1]
	v_mad_u64_u32 v[0:1], s[6:7], s4, v12, v[0:1]
	v_cvt_f32_f64_e32 v4, v[4:5]
	v_cvt_f32_f64_e32 v5, v[2:3]
	v_add_u32_e32 v1, s3, v1
	global_store_dwordx2 v[0:1], v[4:5], off
	v_accvgpr_read_b32 v4, a42
	v_accvgpr_read_b32 v5, a43
	v_mul_f32_e32 v2, v5, v7
	v_fmac_f32_e32 v2, v4, v6
	v_cvt_f64_f32_e32 v[2:3], v2
	v_mul_f64 v[2:3], v[2:3], s[0:1]
	v_cvt_f32_f64_e32 v2, v[2:3]
	v_mul_f32_e32 v3, v5, v6
	v_fma_f32 v3, v4, v7, -v3
	v_cvt_f64_f32_e32 v[4:5], v3
	v_mul_f64 v[4:5], v[4:5], s[0:1]
	v_cvt_f32_f64_e32 v3, v[4:5]
	v_mad_u64_u32 v[4:5], s[6:7], s4, v14, v[0:1]
	v_add_u32_e32 v5, s2, v5
	global_store_dwordx2 v[4:5], v[2:3], off
	v_accvgpr_read_b32 v2, a38
	v_accvgpr_read_b32 v3, a39
	v_mul_f32_e32 v0, v3, v11
	v_fmac_f32_e32 v0, v2, v10
	v_cvt_f64_f32_e32 v[0:1], v0
	v_mul_f64 v[0:1], v[0:1], s[0:1]
	v_cvt_f32_f64_e32 v6, v[0:1]
	v_mul_f32_e32 v0, v3, v10
	v_fma_f32 v0, v2, v11, -v0
	v_cvt_f64_f32_e32 v[0:1], v0
	v_mul_f64 v[0:1], v[0:1], s[0:1]
	v_cvt_f32_f64_e32 v7, v[0:1]
	ds_read2_b64 v[0:3], v147 offset0:116 offset1:241
	v_mad_u64_u32 v[8:9], s[6:7], s4, v14, v[4:5]
	v_add_u32_e32 v9, s2, v9
	global_store_dwordx2 v[8:9], v[6:7], off
	v_accvgpr_read_b32 v6, a32
	v_accvgpr_read_b32 v7, a33
	s_waitcnt lgkmcnt(0)
	v_mul_f32_e32 v4, v7, v1
	v_fmac_f32_e32 v4, v6, v0
	v_mul_f32_e32 v0, v7, v0
	v_cvt_f64_f32_e32 v[4:5], v4
	v_fma_f32 v0, v6, v1, -v0
	v_mul_f64 v[4:5], v[4:5], s[0:1]
	v_cvt_f64_f32_e32 v[0:1], v0
	v_cvt_f32_f64_e32 v10, v[4:5]
	v_mul_f64 v[0:1], v[0:1], s[0:1]
	ds_read2_b64 v[4:7], v135 offset0:86 offset1:211
	v_cvt_f32_f64_e32 v11, v[0:1]
	v_mad_u64_u32 v[0:1], s[6:7], s4, v12, v[8:9]
	v_add_u32_e32 v1, s3, v1
	global_store_dwordx2 v[0:1], v[10:11], off
	v_accvgpr_read_b32 v10, a30
	v_accvgpr_read_b32 v11, a31
	s_waitcnt lgkmcnt(0)
	v_mul_f32_e32 v8, v11, v5
	v_fmac_f32_e32 v8, v10, v4
	v_cvt_f64_f32_e32 v[8:9], v8
	v_mul_f32_e32 v4, v11, v4
	v_mul_f64 v[8:9], v[8:9], s[0:1]
	v_fma_f32 v4, v10, v5, -v4
	v_cvt_f32_f64_e32 v12, v[8:9]
	v_cvt_f64_f32_e32 v[4:5], v4
	ds_read2_b64 v[8:11], v131 offset0:56 offset1:181
	v_mul_f64 v[4:5], v[4:5], s[0:1]
	v_mad_u64_u32 v[0:1], s[6:7], s4, v14, v[0:1]
	v_cvt_f32_f64_e32 v13, v[4:5]
	v_add_u32_e32 v1, s2, v1
	global_store_dwordx2 v[0:1], v[12:13], off
	v_accvgpr_read_b32 v12, a44
	v_accvgpr_read_b32 v13, a45
	s_waitcnt lgkmcnt(0)
	v_mul_f32_e32 v4, v13, v9
	v_fmac_f32_e32 v4, v12, v8
	v_cvt_f64_f32_e32 v[4:5], v4
	v_mul_f64 v[4:5], v[4:5], s[0:1]
	v_cvt_f32_f64_e32 v4, v[4:5]
	v_mul_f32_e32 v5, v13, v8
	v_fma_f32 v5, v12, v9, -v5
	v_cvt_f64_f32_e32 v[8:9], v5
	v_mul_f64 v[8:9], v[8:9], s[0:1]
	v_cvt_f32_f64_e32 v5, v[8:9]
	v_mad_u64_u32 v[0:1], s[6:7], s4, v14, v[0:1]
	v_accvgpr_read_b32 v8, a40
	v_add_u32_e32 v1, s2, v1
	v_accvgpr_read_b32 v9, a41
	global_store_dwordx2 v[0:1], v[4:5], off
	v_mul_f32_e32 v4, v9, v3
	v_fmac_f32_e32 v4, v8, v2
	v_mul_f32_e32 v2, v9, v2
	v_fma_f32 v2, v8, v3, -v2
	v_mov_b32_e32 v15, 0xffffb5c8
	v_cvt_f64_f32_e32 v[4:5], v4
	v_cvt_f64_f32_e32 v[2:3], v2
	v_mul_f64 v[4:5], v[4:5], s[0:1]
	v_mul_f64 v[2:3], v[2:3], s[0:1]
	v_mad_u64_u32 v[0:1], s[6:7], s4, v15, v[0:1]
	v_cvt_f32_f64_e32 v4, v[4:5]
	v_cvt_f32_f64_e32 v5, v[2:3]
	v_add_u32_e32 v1, s3, v1
	global_store_dwordx2 v[0:1], v[4:5], off
	v_accvgpr_read_b32 v4, a36
	v_accvgpr_read_b32 v5, a37
	v_mul_f32_e32 v2, v5, v7
	v_fmac_f32_e32 v2, v4, v6
	v_cvt_f64_f32_e32 v[2:3], v2
	v_mul_f64 v[2:3], v[2:3], s[0:1]
	v_cvt_f32_f64_e32 v2, v[2:3]
	v_mul_f32_e32 v3, v5, v6
	v_fma_f32 v3, v4, v7, -v3
	v_cvt_f64_f32_e32 v[4:5], v3
	v_mul_f64 v[4:5], v[4:5], s[0:1]
	v_cvt_f32_f64_e32 v3, v[4:5]
	v_mad_u64_u32 v[4:5], s[6:7], s4, v14, v[0:1]
	v_add_u32_e32 v5, s2, v5
	global_store_dwordx2 v[4:5], v[2:3], off
	v_accvgpr_read_b32 v2, a34
	v_accvgpr_read_b32 v3, a35
	v_mul_f32_e32 v0, v3, v11
	v_fmac_f32_e32 v0, v2, v10
	v_cvt_f64_f32_e32 v[0:1], v0
	v_mul_f64 v[0:1], v[0:1], s[0:1]
	v_cvt_f32_f64_e32 v6, v[0:1]
	v_mul_f32_e32 v0, v3, v10
	v_fma_f32 v0, v2, v11, -v0
	v_cvt_f64_f32_e32 v[0:1], v0
	v_mul_f64 v[0:1], v[0:1], s[0:1]
	v_cvt_f32_f64_e32 v7, v[0:1]
	ds_read2_b64 v[0:3], v103 offset0:110 offset1:235
	v_mad_u64_u32 v[8:9], s[6:7], s4, v14, v[4:5]
	v_add_u32_e32 v9, s2, v9
	global_store_dwordx2 v[8:9], v[6:7], off
	v_accvgpr_read_b32 v6, a28
	v_accvgpr_read_b32 v7, a29
	s_waitcnt lgkmcnt(0)
	v_mul_f32_e32 v4, v7, v1
	v_fmac_f32_e32 v4, v6, v0
	v_mul_f32_e32 v0, v7, v0
	v_cvt_f64_f32_e32 v[4:5], v4
	v_fma_f32 v0, v6, v1, -v0
	v_mul_f64 v[4:5], v[4:5], s[0:1]
	v_cvt_f64_f32_e32 v[0:1], v0
	v_cvt_f32_f64_e32 v10, v[4:5]
	v_mul_f64 v[0:1], v[0:1], s[0:1]
	ds_read2_b64 v[4:7], v127 offset0:80 offset1:205
	v_cvt_f32_f64_e32 v11, v[0:1]
	v_mad_u64_u32 v[0:1], s[6:7], s4, v15, v[8:9]
	v_add_u32_e32 v1, s3, v1
	global_store_dwordx2 v[0:1], v[10:11], off
	v_accvgpr_read_b32 v10, a26
	v_accvgpr_read_b32 v11, a27
	s_waitcnt lgkmcnt(0)
	v_mul_f32_e32 v8, v11, v5
	v_fmac_f32_e32 v8, v10, v4
	v_cvt_f64_f32_e32 v[8:9], v8
	v_mul_f32_e32 v4, v11, v4
	v_mul_f64 v[8:9], v[8:9], s[0:1]
	v_fma_f32 v4, v10, v5, -v4
	v_cvt_f32_f64_e32 v12, v[8:9]
	v_cvt_f64_f32_e32 v[4:5], v4
	ds_read2_b64 v[8:11], v123 offset0:50 offset1:175
	v_mul_f64 v[4:5], v[4:5], s[0:1]
	v_mad_u64_u32 v[0:1], s[6:7], s4, v14, v[0:1]
	v_cvt_f32_f64_e32 v13, v[4:5]
	v_add_u32_e32 v1, s2, v1
	global_store_dwordx2 v[0:1], v[12:13], off
	v_accvgpr_read_b32 v12, a22
	v_accvgpr_read_b32 v13, a23
	s_waitcnt lgkmcnt(0)
	v_mul_f32_e32 v4, v13, v9
	v_fmac_f32_e32 v4, v12, v8
	v_cvt_f64_f32_e32 v[4:5], v4
	v_mul_f64 v[4:5], v[4:5], s[0:1]
	v_cvt_f32_f64_e32 v4, v[4:5]
	v_mul_f32_e32 v5, v13, v8
	v_fma_f32 v5, v12, v9, -v5
	v_cvt_f64_f32_e32 v[8:9], v5
	v_mul_f64 v[8:9], v[8:9], s[0:1]
	v_cvt_f32_f64_e32 v5, v[8:9]
	v_mad_u64_u32 v[0:1], s[6:7], s4, v14, v[0:1]
	v_accvgpr_read_b32 v8, a20
	v_add_u32_e32 v1, s2, v1
	v_accvgpr_read_b32 v9, a21
	global_store_dwordx2 v[0:1], v[4:5], off
	v_mul_f32_e32 v4, v9, v3
	v_fmac_f32_e32 v4, v8, v2
	v_mul_f32_e32 v2, v9, v2
	v_fma_f32 v2, v8, v3, -v2
	v_cvt_f64_f32_e32 v[4:5], v4
	v_cvt_f64_f32_e32 v[2:3], v2
	v_mov_b32_e32 v12, 0xffffb5c8
	v_mul_f64 v[4:5], v[4:5], s[0:1]
	v_mul_f64 v[2:3], v[2:3], s[0:1]
	v_mad_u64_u32 v[0:1], s[6:7], s4, v12, v[0:1]
	v_cvt_f32_f64_e32 v4, v[4:5]
	v_cvt_f32_f64_e32 v5, v[2:3]
	v_add_u32_e32 v1, s3, v1
	global_store_dwordx2 v[0:1], v[4:5], off
	v_accvgpr_read_b32 v4, a18
	v_accvgpr_read_b32 v5, a19
	v_mul_f32_e32 v2, v5, v7
	v_fmac_f32_e32 v2, v4, v6
	v_cvt_f64_f32_e32 v[2:3], v2
	v_mul_f64 v[2:3], v[2:3], s[0:1]
	v_cvt_f32_f64_e32 v2, v[2:3]
	v_mul_f32_e32 v3, v5, v6
	v_fma_f32 v3, v4, v7, -v3
	v_cvt_f64_f32_e32 v[4:5], v3
	v_mul_f64 v[4:5], v[4:5], s[0:1]
	v_cvt_f32_f64_e32 v3, v[4:5]
	v_mad_u64_u32 v[4:5], s[6:7], s4, v14, v[0:1]
	v_add_u32_e32 v5, s2, v5
	global_store_dwordx2 v[4:5], v[2:3], off
	v_accvgpr_read_b32 v2, a16
	v_accvgpr_read_b32 v3, a17
	v_mul_f32_e32 v0, v3, v11
	v_fmac_f32_e32 v0, v2, v10
	v_cvt_f64_f32_e32 v[0:1], v0
	v_mul_f64 v[0:1], v[0:1], s[0:1]
	v_cvt_f32_f64_e32 v6, v[0:1]
	v_mul_f32_e32 v0, v3, v10
	v_fma_f32 v0, v2, v11, -v0
	v_cvt_f64_f32_e32 v[0:1], v0
	v_mul_f64 v[0:1], v[0:1], s[0:1]
	v_cvt_f32_f64_e32 v7, v[0:1]
	ds_read2_b64 v[0:3], v97 offset0:104 offset1:229
	v_mad_u64_u32 v[8:9], s[6:7], s4, v14, v[4:5]
	v_add_u32_e32 v9, s2, v9
	global_store_dwordx2 v[8:9], v[6:7], off
	v_accvgpr_read_b32 v6, a14
	v_accvgpr_read_b32 v7, a15
	s_waitcnt lgkmcnt(0)
	v_mul_f32_e32 v4, v7, v1
	v_fmac_f32_e32 v4, v6, v0
	v_mul_f32_e32 v0, v7, v0
	v_cvt_f64_f32_e32 v[4:5], v4
	v_fma_f32 v0, v6, v1, -v0
	v_mul_f64 v[4:5], v[4:5], s[0:1]
	v_cvt_f64_f32_e32 v[0:1], v0
	v_cvt_f32_f64_e32 v10, v[4:5]
	v_mul_f64 v[0:1], v[0:1], s[0:1]
	ds_read2_b64 v[4:7], v111 offset0:74 offset1:199
	v_cvt_f32_f64_e32 v11, v[0:1]
	v_mad_u64_u32 v[0:1], s[6:7], s4, v12, v[8:9]
	v_add_u32_e32 v1, s3, v1
	global_store_dwordx2 v[0:1], v[10:11], off
	v_accvgpr_read_b32 v10, a12
	v_accvgpr_read_b32 v11, a13
	s_waitcnt lgkmcnt(0)
	v_mul_f32_e32 v8, v11, v5
	v_fmac_f32_e32 v8, v10, v4
	v_cvt_f64_f32_e32 v[8:9], v8
	v_mul_f64 v[8:9], v[8:9], s[0:1]
	v_mul_f32_e32 v4, v11, v4
	v_cvt_f32_f64_e32 v12, v[8:9]
	v_fma_f32 v4, v10, v5, -v4
	ds_read2_b64 v[8:11], v115 offset0:44 offset1:169
	v_cvt_f64_f32_e32 v[4:5], v4
	v_mul_f64 v[4:5], v[4:5], s[0:1]
	v_mad_u64_u32 v[0:1], s[6:7], s4, v14, v[0:1]
	v_cvt_f32_f64_e32 v13, v[4:5]
	v_add_u32_e32 v1, s2, v1
	global_store_dwordx2 v[0:1], v[12:13], off
	v_accvgpr_read_b32 v13, a11
	v_accvgpr_read_b32 v12, a10
	s_waitcnt lgkmcnt(0)
	v_mul_f32_e32 v4, v13, v9
	v_fmac_f32_e32 v4, v12, v8
	v_cvt_f64_f32_e32 v[4:5], v4
	v_mul_f64 v[4:5], v[4:5], s[0:1]
	v_cvt_f32_f64_e32 v4, v[4:5]
	v_mul_f32_e32 v5, v13, v8
	v_fma_f32 v5, v12, v9, -v5
	v_cvt_f64_f32_e32 v[8:9], v5
	v_mul_f64 v[8:9], v[8:9], s[0:1]
	v_cvt_f32_f64_e32 v5, v[8:9]
	v_mad_u64_u32 v[0:1], s[6:7], s4, v14, v[0:1]
	v_accvgpr_read_b32 v8, a8
	v_add_u32_e32 v1, s2, v1
	v_accvgpr_read_b32 v9, a9
	global_store_dwordx2 v[0:1], v[4:5], off
	v_mul_f32_e32 v4, v9, v3
	v_fmac_f32_e32 v4, v8, v2
	v_mul_f32_e32 v2, v9, v2
	v_fma_f32 v2, v8, v3, -v2
	v_mov_b32_e32 v15, 0xffffb5c8
	v_cvt_f64_f32_e32 v[4:5], v4
	v_cvt_f64_f32_e32 v[2:3], v2
	v_mul_f64 v[4:5], v[4:5], s[0:1]
	v_mul_f64 v[2:3], v[2:3], s[0:1]
	v_mad_u64_u32 v[0:1], s[6:7], s4, v15, v[0:1]
	v_cvt_f32_f64_e32 v4, v[4:5]
	v_cvt_f32_f64_e32 v5, v[2:3]
	v_add_u32_e32 v1, s3, v1
	global_store_dwordx2 v[0:1], v[4:5], off
	v_accvgpr_read_b32 v4, a6
	v_accvgpr_read_b32 v5, a7
	v_mul_f32_e32 v2, v5, v7
	v_fmac_f32_e32 v2, v4, v6
	v_cvt_f64_f32_e32 v[2:3], v2
	v_mul_f64 v[2:3], v[2:3], s[0:1]
	v_cvt_f32_f64_e32 v2, v[2:3]
	v_mul_f32_e32 v3, v5, v6
	v_fma_f32 v3, v4, v7, -v3
	v_cvt_f64_f32_e32 v[4:5], v3
	v_mul_f64 v[4:5], v[4:5], s[0:1]
	v_cvt_f32_f64_e32 v3, v[4:5]
	v_mad_u64_u32 v[0:1], s[6:7], s4, v14, v[0:1]
	v_accvgpr_read_b32 v4, a4
	v_add_u32_e32 v1, s2, v1
	v_accvgpr_read_b32 v5, a5
	global_store_dwordx2 v[0:1], v[2:3], off
	v_mul_f32_e32 v2, v5, v11
	v_fmac_f32_e32 v2, v4, v10
	v_cvt_f64_f32_e32 v[2:3], v2
	v_mul_f64 v[2:3], v[2:3], s[0:1]
	v_cvt_f32_f64_e32 v2, v[2:3]
	v_mul_f32_e32 v3, v5, v10
	v_fma_f32 v3, v4, v11, -v3
	v_cvt_f64_f32_e32 v[4:5], v3
	v_mul_f64 v[4:5], v[4:5], s[0:1]
	v_mad_u64_u32 v[0:1], s[0:1], s4, v14, v[0:1]
	v_cvt_f32_f64_e32 v3, v[4:5]
	v_add_u32_e32 v1, s2, v1
	global_store_dwordx2 v[0:1], v[2:3], off
.LBB0_2:
	s_endpgm
	.section	.rodata,"a",@progbits
	.p2align	6, 0x0
	.amdhsa_kernel bluestein_single_back_len3750_dim1_sp_op_CI_CI
		.amdhsa_group_segment_fixed_size 30000
		.amdhsa_private_segment_fixed_size 0
		.amdhsa_kernarg_size 104
		.amdhsa_user_sgpr_count 2
		.amdhsa_user_sgpr_dispatch_ptr 0
		.amdhsa_user_sgpr_queue_ptr 0
		.amdhsa_user_sgpr_kernarg_segment_ptr 1
		.amdhsa_user_sgpr_dispatch_id 0
		.amdhsa_user_sgpr_kernarg_preload_length 0
		.amdhsa_user_sgpr_kernarg_preload_offset 0
		.amdhsa_user_sgpr_private_segment_size 0
		.amdhsa_uses_dynamic_stack 0
		.amdhsa_enable_private_segment 0
		.amdhsa_system_sgpr_workgroup_id_x 1
		.amdhsa_system_sgpr_workgroup_id_y 0
		.amdhsa_system_sgpr_workgroup_id_z 0
		.amdhsa_system_sgpr_workgroup_info 0
		.amdhsa_system_vgpr_workitem_id 0
		.amdhsa_next_free_vgpr 496
		.amdhsa_next_free_sgpr 20
		.amdhsa_accum_offset 256
		.amdhsa_reserve_vcc 1
		.amdhsa_float_round_mode_32 0
		.amdhsa_float_round_mode_16_64 0
		.amdhsa_float_denorm_mode_32 3
		.amdhsa_float_denorm_mode_16_64 3
		.amdhsa_dx10_clamp 1
		.amdhsa_ieee_mode 1
		.amdhsa_fp16_overflow 0
		.amdhsa_tg_split 0
		.amdhsa_exception_fp_ieee_invalid_op 0
		.amdhsa_exception_fp_denorm_src 0
		.amdhsa_exception_fp_ieee_div_zero 0
		.amdhsa_exception_fp_ieee_overflow 0
		.amdhsa_exception_fp_ieee_underflow 0
		.amdhsa_exception_fp_ieee_inexact 0
		.amdhsa_exception_int_div_zero 0
	.end_amdhsa_kernel
	.text
.Lfunc_end0:
	.size	bluestein_single_back_len3750_dim1_sp_op_CI_CI, .Lfunc_end0-bluestein_single_back_len3750_dim1_sp_op_CI_CI
                                        ; -- End function
	.section	.AMDGPU.csdata,"",@progbits
; Kernel info:
; codeLenInByte = 35996
; NumSgprs: 26
; NumVgprs: 256
; NumAgprs: 240
; TotalNumVgprs: 496
; ScratchSize: 0
; MemoryBound: 0
; FloatMode: 240
; IeeeMode: 1
; LDSByteSize: 30000 bytes/workgroup (compile time only)
; SGPRBlocks: 3
; VGPRBlocks: 61
; NumSGPRsForWavesPerEU: 26
; NumVGPRsForWavesPerEU: 496
; AccumOffset: 256
; Occupancy: 1
; WaveLimiterHint : 1
; COMPUTE_PGM_RSRC2:SCRATCH_EN: 0
; COMPUTE_PGM_RSRC2:USER_SGPR: 2
; COMPUTE_PGM_RSRC2:TRAP_HANDLER: 0
; COMPUTE_PGM_RSRC2:TGID_X_EN: 1
; COMPUTE_PGM_RSRC2:TGID_Y_EN: 0
; COMPUTE_PGM_RSRC2:TGID_Z_EN: 0
; COMPUTE_PGM_RSRC2:TIDIG_COMP_CNT: 0
; COMPUTE_PGM_RSRC3_GFX90A:ACCUM_OFFSET: 63
; COMPUTE_PGM_RSRC3_GFX90A:TG_SPLIT: 0
	.text
	.p2alignl 6, 3212836864
	.fill 256, 4, 3212836864
	.type	__hip_cuid_8aee3a42bcd575ce,@object ; @__hip_cuid_8aee3a42bcd575ce
	.section	.bss,"aw",@nobits
	.globl	__hip_cuid_8aee3a42bcd575ce
__hip_cuid_8aee3a42bcd575ce:
	.byte	0                               ; 0x0
	.size	__hip_cuid_8aee3a42bcd575ce, 1

	.ident	"AMD clang version 19.0.0git (https://github.com/RadeonOpenCompute/llvm-project roc-6.4.0 25133 c7fe45cf4b819c5991fe208aaa96edf142730f1d)"
	.section	".note.GNU-stack","",@progbits
	.addrsig
	.addrsig_sym __hip_cuid_8aee3a42bcd575ce
	.amdgpu_metadata
---
amdhsa.kernels:
  - .agpr_count:     240
    .args:
      - .actual_access:  read_only
        .address_space:  global
        .offset:         0
        .size:           8
        .value_kind:     global_buffer
      - .actual_access:  read_only
        .address_space:  global
        .offset:         8
        .size:           8
        .value_kind:     global_buffer
      - .actual_access:  read_only
        .address_space:  global
        .offset:         16
        .size:           8
        .value_kind:     global_buffer
      - .actual_access:  read_only
        .address_space:  global
        .offset:         24
        .size:           8
        .value_kind:     global_buffer
      - .actual_access:  read_only
        .address_space:  global
        .offset:         32
        .size:           8
        .value_kind:     global_buffer
      - .offset:         40
        .size:           8
        .value_kind:     by_value
      - .address_space:  global
        .offset:         48
        .size:           8
        .value_kind:     global_buffer
      - .address_space:  global
        .offset:         56
        .size:           8
        .value_kind:     global_buffer
      - .address_space:  global
        .offset:         64
        .size:           8
        .value_kind:     global_buffer
      - .address_space:  global
        .offset:         72
        .size:           8
        .value_kind:     global_buffer
      - .offset:         80
        .size:           4
        .value_kind:     by_value
      - .address_space:  global
        .offset:         88
        .size:           8
        .value_kind:     global_buffer
      - .address_space:  global
        .offset:         96
        .size:           8
        .value_kind:     global_buffer
    .group_segment_fixed_size: 30000
    .kernarg_segment_align: 8
    .kernarg_segment_size: 104
    .language:       OpenCL C
    .language_version:
      - 2
      - 0
    .max_flat_workgroup_size: 125
    .name:           bluestein_single_back_len3750_dim1_sp_op_CI_CI
    .private_segment_fixed_size: 0
    .sgpr_count:     26
    .sgpr_spill_count: 0
    .symbol:         bluestein_single_back_len3750_dim1_sp_op_CI_CI.kd
    .uniform_work_group_size: 1
    .uses_dynamic_stack: false
    .vgpr_count:     496
    .vgpr_spill_count: 0
    .wavefront_size: 64
amdhsa.target:   amdgcn-amd-amdhsa--gfx950
amdhsa.version:
  - 1
  - 2
...

	.end_amdgpu_metadata
